;; amdgpu-corpus repo=ROCm/rocFFT kind=compiled arch=gfx906 opt=O3
	.text
	.amdgcn_target "amdgcn-amd-amdhsa--gfx906"
	.amdhsa_code_object_version 6
	.protected	fft_rtc_fwd_len2016_factors_2_2_2_2_2_3_3_7_wgs_224_tpt_112_halfLds_dp_ip_CI_sbrr_dirReg ; -- Begin function fft_rtc_fwd_len2016_factors_2_2_2_2_2_3_3_7_wgs_224_tpt_112_halfLds_dp_ip_CI_sbrr_dirReg
	.globl	fft_rtc_fwd_len2016_factors_2_2_2_2_2_3_3_7_wgs_224_tpt_112_halfLds_dp_ip_CI_sbrr_dirReg
	.p2align	8
	.type	fft_rtc_fwd_len2016_factors_2_2_2_2_2_3_3_7_wgs_224_tpt_112_halfLds_dp_ip_CI_sbrr_dirReg,@function
fft_rtc_fwd_len2016_factors_2_2_2_2_2_3_3_7_wgs_224_tpt_112_halfLds_dp_ip_CI_sbrr_dirReg: ; @fft_rtc_fwd_len2016_factors_2_2_2_2_2_3_3_7_wgs_224_tpt_112_halfLds_dp_ip_CI_sbrr_dirReg
; %bb.0:
	s_load_dwordx2 s[14:15], s[4:5], 0x18
	s_load_dwordx4 s[8:11], s[4:5], 0x0
	s_load_dwordx2 s[12:13], s[4:5], 0x50
	v_mul_u32_u24_e32 v1, 0x24a, v0
	v_lshrrev_b32_e32 v77, 16, v1
	s_waitcnt lgkmcnt(0)
	s_load_dwordx2 s[2:3], s[14:15], 0x0
	v_cmp_lt_u64_e64 s[0:1], s[10:11], 2
	v_mov_b32_e32 v3, 0
	v_mov_b32_e32 v1, 0
	v_lshl_add_u32 v5, s6, 1, v77
	v_mov_b32_e32 v6, v3
	s_and_b64 vcc, exec, s[0:1]
	v_mov_b32_e32 v2, 0
	s_cbranch_vccnz .LBB0_8
; %bb.1:
	s_load_dwordx2 s[0:1], s[4:5], 0x10
	s_add_u32 s6, s14, 8
	s_addc_u32 s7, s15, 0
	v_mov_b32_e32 v1, 0
	v_mov_b32_e32 v2, 0
	s_waitcnt lgkmcnt(0)
	s_add_u32 s16, s0, 8
	s_addc_u32 s17, s1, 0
	s_mov_b64 s[18:19], 1
.LBB0_2:                                ; =>This Inner Loop Header: Depth=1
	s_load_dwordx2 s[20:21], s[16:17], 0x0
                                        ; implicit-def: $vgpr7_vgpr8
	s_waitcnt lgkmcnt(0)
	v_or_b32_e32 v4, s21, v6
	v_cmp_ne_u64_e32 vcc, 0, v[3:4]
	s_and_saveexec_b64 s[0:1], vcc
	s_xor_b64 s[22:23], exec, s[0:1]
	s_cbranch_execz .LBB0_4
; %bb.3:                                ;   in Loop: Header=BB0_2 Depth=1
	v_cvt_f32_u32_e32 v4, s20
	v_cvt_f32_u32_e32 v7, s21
	s_sub_u32 s0, 0, s20
	s_subb_u32 s1, 0, s21
	v_mac_f32_e32 v4, 0x4f800000, v7
	v_rcp_f32_e32 v4, v4
	v_mul_f32_e32 v4, 0x5f7ffffc, v4
	v_mul_f32_e32 v7, 0x2f800000, v4
	v_trunc_f32_e32 v7, v7
	v_mac_f32_e32 v4, 0xcf800000, v7
	v_cvt_u32_f32_e32 v7, v7
	v_cvt_u32_f32_e32 v4, v4
	v_mul_lo_u32 v8, s0, v7
	v_mul_hi_u32 v9, s0, v4
	v_mul_lo_u32 v11, s1, v4
	v_mul_lo_u32 v10, s0, v4
	v_add_u32_e32 v8, v9, v8
	v_add_u32_e32 v8, v8, v11
	v_mul_hi_u32 v9, v4, v10
	v_mul_lo_u32 v11, v4, v8
	v_mul_hi_u32 v13, v4, v8
	v_mul_hi_u32 v12, v7, v10
	v_mul_lo_u32 v10, v7, v10
	v_mul_hi_u32 v14, v7, v8
	v_add_co_u32_e32 v9, vcc, v9, v11
	v_addc_co_u32_e32 v11, vcc, 0, v13, vcc
	v_mul_lo_u32 v8, v7, v8
	v_add_co_u32_e32 v9, vcc, v9, v10
	v_addc_co_u32_e32 v9, vcc, v11, v12, vcc
	v_addc_co_u32_e32 v10, vcc, 0, v14, vcc
	v_add_co_u32_e32 v8, vcc, v9, v8
	v_addc_co_u32_e32 v9, vcc, 0, v10, vcc
	v_add_co_u32_e32 v4, vcc, v4, v8
	v_addc_co_u32_e32 v7, vcc, v7, v9, vcc
	v_mul_lo_u32 v8, s0, v7
	v_mul_hi_u32 v9, s0, v4
	v_mul_lo_u32 v10, s1, v4
	v_mul_lo_u32 v11, s0, v4
	v_add_u32_e32 v8, v9, v8
	v_add_u32_e32 v8, v8, v10
	v_mul_lo_u32 v12, v4, v8
	v_mul_hi_u32 v13, v4, v11
	v_mul_hi_u32 v14, v4, v8
	v_mul_hi_u32 v10, v7, v11
	v_mul_lo_u32 v11, v7, v11
	v_mul_hi_u32 v9, v7, v8
	v_add_co_u32_e32 v12, vcc, v13, v12
	v_addc_co_u32_e32 v13, vcc, 0, v14, vcc
	v_mul_lo_u32 v8, v7, v8
	v_add_co_u32_e32 v11, vcc, v12, v11
	v_addc_co_u32_e32 v10, vcc, v13, v10, vcc
	v_addc_co_u32_e32 v9, vcc, 0, v9, vcc
	v_add_co_u32_e32 v8, vcc, v10, v8
	v_addc_co_u32_e32 v9, vcc, 0, v9, vcc
	v_add_co_u32_e32 v4, vcc, v4, v8
	v_addc_co_u32_e32 v9, vcc, v7, v9, vcc
	v_mad_u64_u32 v[7:8], s[0:1], v5, v9, 0
	v_mul_hi_u32 v10, v5, v4
	v_add_co_u32_e32 v11, vcc, v10, v7
	v_addc_co_u32_e32 v12, vcc, 0, v8, vcc
	v_mad_u64_u32 v[7:8], s[0:1], v6, v4, 0
	v_mad_u64_u32 v[9:10], s[0:1], v6, v9, 0
	v_add_co_u32_e32 v4, vcc, v11, v7
	v_addc_co_u32_e32 v4, vcc, v12, v8, vcc
	v_addc_co_u32_e32 v7, vcc, 0, v10, vcc
	v_add_co_u32_e32 v4, vcc, v4, v9
	v_addc_co_u32_e32 v9, vcc, 0, v7, vcc
	v_mul_lo_u32 v10, s21, v4
	v_mul_lo_u32 v11, s20, v9
	v_mad_u64_u32 v[7:8], s[0:1], s20, v4, 0
	v_add3_u32 v8, v8, v11, v10
	v_sub_u32_e32 v10, v6, v8
	v_mov_b32_e32 v11, s21
	v_sub_co_u32_e32 v7, vcc, v5, v7
	v_subb_co_u32_e64 v10, s[0:1], v10, v11, vcc
	v_subrev_co_u32_e64 v11, s[0:1], s20, v7
	v_subbrev_co_u32_e64 v10, s[0:1], 0, v10, s[0:1]
	v_cmp_le_u32_e64 s[0:1], s21, v10
	v_cndmask_b32_e64 v12, 0, -1, s[0:1]
	v_cmp_le_u32_e64 s[0:1], s20, v11
	v_cndmask_b32_e64 v11, 0, -1, s[0:1]
	v_cmp_eq_u32_e64 s[0:1], s21, v10
	v_cndmask_b32_e64 v10, v12, v11, s[0:1]
	v_add_co_u32_e64 v11, s[0:1], 2, v4
	v_addc_co_u32_e64 v12, s[0:1], 0, v9, s[0:1]
	v_add_co_u32_e64 v13, s[0:1], 1, v4
	v_addc_co_u32_e64 v14, s[0:1], 0, v9, s[0:1]
	v_subb_co_u32_e32 v8, vcc, v6, v8, vcc
	v_cmp_ne_u32_e64 s[0:1], 0, v10
	v_cmp_le_u32_e32 vcc, s21, v8
	v_cndmask_b32_e64 v10, v14, v12, s[0:1]
	v_cndmask_b32_e64 v12, 0, -1, vcc
	v_cmp_le_u32_e32 vcc, s20, v7
	v_cndmask_b32_e64 v7, 0, -1, vcc
	v_cmp_eq_u32_e32 vcc, s21, v8
	v_cndmask_b32_e32 v7, v12, v7, vcc
	v_cmp_ne_u32_e32 vcc, 0, v7
	v_cndmask_b32_e64 v7, v13, v11, s[0:1]
	v_cndmask_b32_e32 v8, v9, v10, vcc
	v_cndmask_b32_e32 v7, v4, v7, vcc
.LBB0_4:                                ;   in Loop: Header=BB0_2 Depth=1
	s_andn2_saveexec_b64 s[0:1], s[22:23]
	s_cbranch_execz .LBB0_6
; %bb.5:                                ;   in Loop: Header=BB0_2 Depth=1
	v_cvt_f32_u32_e32 v4, s20
	s_sub_i32 s22, 0, s20
	v_rcp_iflag_f32_e32 v4, v4
	v_mul_f32_e32 v4, 0x4f7ffffe, v4
	v_cvt_u32_f32_e32 v4, v4
	v_mul_lo_u32 v7, s22, v4
	v_mul_hi_u32 v7, v4, v7
	v_add_u32_e32 v4, v4, v7
	v_mul_hi_u32 v4, v5, v4
	v_mul_lo_u32 v7, v4, s20
	v_add_u32_e32 v8, 1, v4
	v_sub_u32_e32 v7, v5, v7
	v_subrev_u32_e32 v9, s20, v7
	v_cmp_le_u32_e32 vcc, s20, v7
	v_cndmask_b32_e32 v7, v7, v9, vcc
	v_cndmask_b32_e32 v4, v4, v8, vcc
	v_add_u32_e32 v8, 1, v4
	v_cmp_le_u32_e32 vcc, s20, v7
	v_cndmask_b32_e32 v7, v4, v8, vcc
	v_mov_b32_e32 v8, v3
.LBB0_6:                                ;   in Loop: Header=BB0_2 Depth=1
	s_or_b64 exec, exec, s[0:1]
	v_mul_lo_u32 v4, v8, s20
	v_mul_lo_u32 v11, v7, s21
	v_mad_u64_u32 v[9:10], s[0:1], v7, s20, 0
	s_load_dwordx2 s[0:1], s[6:7], 0x0
	s_add_u32 s18, s18, 1
	v_add3_u32 v4, v10, v11, v4
	v_sub_co_u32_e32 v5, vcc, v5, v9
	v_subb_co_u32_e32 v4, vcc, v6, v4, vcc
	s_waitcnt lgkmcnt(0)
	v_mul_lo_u32 v4, s0, v4
	v_mul_lo_u32 v6, s1, v5
	v_mad_u64_u32 v[1:2], s[0:1], s0, v5, v[1:2]
	s_addc_u32 s19, s19, 0
	s_add_u32 s6, s6, 8
	v_add3_u32 v2, v6, v2, v4
	v_mov_b32_e32 v4, s10
	v_mov_b32_e32 v5, s11
	s_addc_u32 s7, s7, 0
	v_cmp_ge_u64_e32 vcc, s[18:19], v[4:5]
	s_add_u32 s16, s16, 8
	s_addc_u32 s17, s17, 0
	s_cbranch_vccnz .LBB0_9
; %bb.7:                                ;   in Loop: Header=BB0_2 Depth=1
	v_mov_b32_e32 v5, v7
	v_mov_b32_e32 v6, v8
	s_branch .LBB0_2
.LBB0_8:
	v_mov_b32_e32 v8, v6
	v_mov_b32_e32 v7, v5
.LBB0_9:
	s_lshl_b64 s[0:1], s[10:11], 3
	s_add_u32 s0, s14, s0
	s_addc_u32 s1, s15, s1
	s_load_dwordx2 s[6:7], s[0:1], 0x0
	s_load_dwordx2 s[10:11], s[4:5], 0x20
                                        ; implicit-def: $vgpr106
                                        ; implicit-def: $vgpr105
                                        ; implicit-def: $vgpr74
                                        ; implicit-def: $vgpr75
                                        ; implicit-def: $vgpr76
                                        ; implicit-def: $vgpr78
                                        ; implicit-def: $vgpr79
                                        ; implicit-def: $vgpr80
	s_waitcnt lgkmcnt(0)
	v_mad_u64_u32 v[1:2], s[0:1], s6, v7, v[1:2]
	s_mov_b32 s0, 0x2492493
	v_mul_lo_u32 v3, s6, v8
	v_mul_lo_u32 v4, s7, v7
	v_mul_hi_u32 v5, v0, s0
	v_cmp_gt_u64_e32 vcc, s[10:11], v[7:8]
	v_cmp_le_u64_e64 s[0:1], s[10:11], v[7:8]
	v_add3_u32 v2, v4, v2, v3
	v_mul_u32_u24_e32 v3, 0x70, v5
	v_sub_u32_e32 v104, v0, v3
	s_and_saveexec_b64 s[4:5], s[0:1]
	s_xor_b64 s[0:1], exec, s[4:5]
; %bb.10:
	v_add_u32_e32 v106, 0x70, v104
	v_add_u32_e32 v105, 0xe0, v104
	v_add_u32_e32 v74, 0x150, v104
	v_add_u32_e32 v75, 0x1c0, v104
	v_add_u32_e32 v76, 0x230, v104
	v_add_u32_e32 v78, 0x2a0, v104
	v_add_u32_e32 v79, 0x310, v104
	v_or_b32_e32 v80, 0x380, v104
; %bb.11:
	s_or_saveexec_b64 s[4:5], s[0:1]
	v_lshlrev_b64 v[72:73], 4, v[1:2]
                                        ; implicit-def: $vgpr18_vgpr19
                                        ; implicit-def: $vgpr14_vgpr15
                                        ; implicit-def: $vgpr26_vgpr27
                                        ; implicit-def: $vgpr2_vgpr3
                                        ; implicit-def: $vgpr22_vgpr23
                                        ; implicit-def: $vgpr6_vgpr7
                                        ; implicit-def: $vgpr30_vgpr31
                                        ; implicit-def: $vgpr10_vgpr11
                                        ; implicit-def: $vgpr50_vgpr51
                                        ; implicit-def: $vgpr34_vgpr35
                                        ; implicit-def: $vgpr54_vgpr55
                                        ; implicit-def: $vgpr38_vgpr39
                                        ; implicit-def: $vgpr58_vgpr59
                                        ; implicit-def: $vgpr42_vgpr43
                                        ; implicit-def: $vgpr62_vgpr63
                                        ; implicit-def: $vgpr46_vgpr47
                                        ; implicit-def: $vgpr70_vgpr71
                                        ; implicit-def: $vgpr66_vgpr67
	s_xor_b64 exec, exec, s[4:5]
	s_cbranch_execz .LBB0_13
; %bb.12:
	v_mad_u64_u32 v[0:1], s[0:1], s2, v104, 0
	v_add_u32_e32 v5, 0x3f0, v104
	v_mov_b32_e32 v4, s13
	v_mad_u64_u32 v[1:2], s[0:1], s3, v104, v[1:2]
	v_mad_u64_u32 v[2:3], s[0:1], s2, v5, 0
	v_add_co_u32_e64 v8, s[0:1], s12, v72
	v_addc_co_u32_e64 v9, s[0:1], v4, v73, s[0:1]
	v_mad_u64_u32 v[3:4], s[0:1], s3, v5, v[3:4]
	v_add_u32_e32 v106, 0x70, v104
	v_mad_u64_u32 v[4:5], s[0:1], s2, v106, 0
	v_lshlrev_b64 v[0:1], 4, v[0:1]
	v_add_u32_e32 v105, 0xe0, v104
	v_add_co_u32_e64 v12, s[0:1], v8, v0
	v_addc_co_u32_e64 v13, s[0:1], v9, v1, s[0:1]
	v_lshlrev_b64 v[0:1], 4, v[2:3]
	v_mov_b32_e32 v2, v5
	v_mad_u64_u32 v[2:3], s[0:1], s3, v106, v[2:3]
	v_add_u32_e32 v3, 0x460, v104
	v_mad_u64_u32 v[6:7], s[0:1], s2, v3, 0
	v_add_co_u32_e64 v14, s[0:1], v8, v0
	v_mov_b32_e32 v5, v2
	v_mov_b32_e32 v2, v7
	v_addc_co_u32_e64 v15, s[0:1], v9, v1, s[0:1]
	v_mad_u64_u32 v[2:3], s[0:1], s3, v3, v[2:3]
	v_lshlrev_b64 v[0:1], 4, v[4:5]
	v_mad_u64_u32 v[3:4], s[0:1], s2, v105, 0
	v_add_co_u32_e64 v16, s[0:1], v8, v0
	v_mov_b32_e32 v7, v2
	v_mov_b32_e32 v2, v4
	v_addc_co_u32_e64 v17, s[0:1], v9, v1, s[0:1]
	v_lshlrev_b64 v[0:1], 4, v[6:7]
	v_mad_u64_u32 v[4:5], s[0:1], s3, v105, v[2:3]
	v_add_u32_e32 v7, 0x4d0, v104
	v_mad_u64_u32 v[5:6], s[0:1], s2, v7, 0
	v_add_co_u32_e64 v18, s[0:1], v8, v0
	v_mov_b32_e32 v2, v6
	v_addc_co_u32_e64 v19, s[0:1], v9, v1, s[0:1]
	v_lshlrev_b64 v[0:1], 4, v[3:4]
	v_mad_u64_u32 v[2:3], s[0:1], s3, v7, v[2:3]
	v_add_u32_e32 v74, 0x150, v104
	v_mad_u64_u32 v[3:4], s[0:1], s2, v74, 0
	v_add_co_u32_e64 v24, s[0:1], v8, v0
	v_mov_b32_e32 v6, v2
	v_mov_b32_e32 v2, v4
	v_addc_co_u32_e64 v25, s[0:1], v9, v1, s[0:1]
	v_lshlrev_b64 v[0:1], 4, v[5:6]
	v_mad_u64_u32 v[4:5], s[0:1], s3, v74, v[2:3]
	v_add_u32_e32 v7, 0x540, v104
	v_mad_u64_u32 v[5:6], s[0:1], s2, v7, 0
	v_add_co_u32_e64 v26, s[0:1], v8, v0
	v_mov_b32_e32 v2, v6
	v_addc_co_u32_e64 v27, s[0:1], v9, v1, s[0:1]
	v_lshlrev_b64 v[0:1], 4, v[3:4]
	v_mad_u64_u32 v[2:3], s[0:1], s3, v7, v[2:3]
	v_add_u32_e32 v75, 0x1c0, v104
	;; [unrolled: 15-line block ×5, first 2 shown]
	v_mad_u64_u32 v[3:4], s[0:1], s2, v79, 0
	v_add_co_u32_e64 v93, s[0:1], v8, v0
	v_mov_b32_e32 v6, v2
	v_mov_b32_e32 v2, v4
	v_addc_co_u32_e64 v94, s[0:1], v9, v1, s[0:1]
	v_lshlrev_b64 v[0:1], 4, v[5:6]
	v_mad_u64_u32 v[4:5], s[0:1], s3, v79, v[2:3]
	v_or_b32_e32 v7, 0x700, v104
	v_mad_u64_u32 v[5:6], s[0:1], s2, v7, 0
	v_add_co_u32_e64 v95, s[0:1], v8, v0
	v_mov_b32_e32 v2, v6
	v_addc_co_u32_e64 v96, s[0:1], v9, v1, s[0:1]
	v_lshlrev_b64 v[0:1], 4, v[3:4]
	v_mad_u64_u32 v[2:3], s[0:1], s3, v7, v[2:3]
	v_or_b32_e32 v80, 0x380, v104
	v_mad_u64_u32 v[3:4], s[0:1], s2, v80, 0
	v_add_co_u32_e64 v97, s[0:1], v8, v0
	v_mov_b32_e32 v6, v2
	v_mov_b32_e32 v2, v4
	v_addc_co_u32_e64 v98, s[0:1], v9, v1, s[0:1]
	v_lshlrev_b64 v[0:1], 4, v[5:6]
	v_mad_u64_u32 v[4:5], s[0:1], s3, v80, v[2:3]
	v_add_u32_e32 v7, 0x770, v104
	v_mad_u64_u32 v[5:6], s[0:1], s2, v7, 0
	v_add_co_u32_e64 v99, s[0:1], v8, v0
	v_mov_b32_e32 v2, v6
	v_addc_co_u32_e64 v100, s[0:1], v9, v1, s[0:1]
	v_lshlrev_b64 v[0:1], 4, v[3:4]
	v_mad_u64_u32 v[2:3], s[0:1], s3, v7, v[2:3]
	v_add_co_u32_e64 v101, s[0:1], v8, v0
	v_mov_b32_e32 v6, v2
	v_addc_co_u32_e64 v102, s[0:1], v9, v1, s[0:1]
	v_lshlrev_b64 v[0:1], 4, v[5:6]
	v_add_co_u32_e64 v107, s[0:1], v8, v0
	v_addc_co_u32_e64 v108, s[0:1], v9, v1, s[0:1]
	global_load_dwordx4 v[64:67], v[12:13], off
	global_load_dwordx4 v[68:71], v[14:15], off
	;; [unrolled: 1-line block ×15, first 2 shown]
                                        ; kill: killed $vgpr18 killed $vgpr19
                                        ; kill: killed $vgpr93 killed $vgpr94
                                        ; kill: killed $vgpr12 killed $vgpr13
                                        ; kill: killed $vgpr95 killed $vgpr96
                                        ; kill: killed $vgpr14 killed $vgpr15
                                        ; kill: killed $vgpr89 killed $vgpr90
                                        ; kill: killed $vgpr91 killed $vgpr92
                                        ; kill: killed $vgpr85 killed $vgpr86
                                        ; kill: killed $vgpr87 killed $vgpr88
                                        ; kill: killed $vgpr81 killed $vgpr82
                                        ; kill: killed $vgpr83 killed $vgpr84
                                        ; kill: killed $vgpr24 killed $vgpr25
                                        ; kill: killed $vgpr26 killed $vgpr27
                                        ; kill: killed $vgpr97 killed $vgpr98
                                        ; kill: killed $vgpr16 killed $vgpr17
	global_load_dwordx4 v[24:27], v[99:100], off
	global_load_dwordx4 v[12:15], v[101:102], off
	;; [unrolled: 1-line block ×3, first 2 shown]
.LBB0_13:
	s_or_b64 exec, exec, s[4:5]
	s_waitcnt vmcnt(16)
	v_add_f64 v[83:84], v[64:65], -v[68:69]
	s_waitcnt vmcnt(14)
	v_add_f64 v[87:88], v[44:45], -v[60:61]
	;; [unrolled: 2-line block ×3, first 2 shown]
	v_add_f64 v[56:57], v[40:41], -v[56:57]
	v_add_f64 v[52:53], v[36:37], -v[52:53]
	;; [unrolled: 1-line block ×4, first 2 shown]
	s_waitcnt vmcnt(6)
	v_add_f64 v[28:29], v[8:9], -v[28:29]
	v_fma_f64 v[81:82], v[64:65], 2.0, -v[83:84]
	v_add_f64 v[63:64], v[46:47], -v[62:63]
	v_fma_f64 v[85:86], v[44:45], 2.0, -v[87:88]
	s_waitcnt vmcnt(4)
	v_add_f64 v[20:21], v[4:5], -v[20:21]
	s_waitcnt vmcnt(2)
	v_add_f64 v[24:25], v[0:1], -v[24:25]
	;; [unrolled: 2-line block ×3, first 2 shown]
	v_add_f64 v[95:96], v[38:39], -v[54:55]
	v_add_f64 v[99:100], v[34:35], -v[50:51]
	v_fma_f64 v[54:55], v[40:41], 2.0, -v[56:57]
	v_fma_f64 v[61:62], v[46:47], 2.0, -v[63:64]
	;; [unrolled: 1-line block ×3, first 2 shown]
	v_add_f64 v[32:33], v[10:11], -v[30:31]
	v_fma_f64 v[50:51], v[36:37], 2.0, -v[52:53]
	v_add_f64 v[36:37], v[6:7], -v[22:23]
	v_add_f64 v[40:41], v[2:3], -v[26:27]
	v_fma_f64 v[66:67], v[66:67], 2.0, -v[68:69]
	v_fma_f64 v[89:90], v[42:43], 2.0, -v[91:92]
	v_add_f64 v[16:17], v[14:15], -v[18:19]
	v_fma_f64 v[26:27], v[8:9], 2.0, -v[28:29]
	v_fma_f64 v[18:19], v[4:5], 2.0, -v[20:21]
	;; [unrolled: 1-line block ×4, first 2 shown]
	v_and_b32_e32 v70, 1, v77
	v_mov_b32_e32 v71, 0x3f00
	v_cmp_eq_u32_e64 s[0:1], 1, v70
	v_cndmask_b32_e64 v60, 0, v71, s[0:1]
	v_fma_f64 v[93:94], v[38:39], 2.0, -v[95:96]
	v_fma_f64 v[97:98], v[34:35], 2.0, -v[99:100]
	v_add_u32_e32 v8, 0, v60
	v_fma_f64 v[30:31], v[10:11], 2.0, -v[32:33]
	v_lshl_add_u32 v9, v104, 4, v8
	v_lshl_add_u32 v10, v106, 4, v8
	;; [unrolled: 1-line block ×5, first 2 shown]
	v_lshlrev_b32_e32 v0, 3, v104
	v_fma_f64 v[34:35], v[6:7], 2.0, -v[36:37]
	ds_write_b128 v9, v[81:84]
	ds_write_b128 v10, v[85:88]
	;; [unrolled: 1-line block ×5, first 2 shown]
	v_lshl_add_u32 v48, v79, 4, v8
	v_add3_u32 v107, 0, v0, v60
	v_lshlrev_b32_e32 v6, 3, v79
	v_fma_f64 v[38:39], v[2:3], 2.0, -v[40:41]
	v_lshl_add_u32 v46, v76, 4, v8
	v_lshl_add_u32 v47, v78, 4, v8
	v_lshl_add_u32 v49, v80, 4, v8
	v_add_u32_e32 v110, v8, v0
	v_add_u32_e32 v2, 0x1c00, v107
	;; [unrolled: 1-line block ×3, first 2 shown]
	v_lshl_add_u32 v0, v74, 3, v8
	v_lshlrev_b32_e32 v1, 3, v75
	v_add_u32_e32 v111, 0x2c00, v107
	v_lshlrev_b32_e32 v4, 3, v76
	v_lshlrev_b32_e32 v5, 3, v78
	v_add_u32_e32 v112, 0x3400, v107
	v_sub_u32_e32 v6, v48, v6
	v_lshlrev_b32_e32 v7, 3, v80
	v_and_b32_e32 v103, 1, v104
	v_fma_f64 v[14:15], v[14:15], 2.0, -v[16:17]
	ds_write_b128 v46, v[26:29]
	ds_write_b128 v47, v[18:21]
	;; [unrolled: 1-line block ×4, first 2 shown]
	s_waitcnt lgkmcnt(0)
	s_barrier
	ds_read_b64 v[54:55], v110
	ds_read2_b64 v[18:21], v2 offset0:112 offset1:224
	v_lshl_add_u32 v109, v106, 3, v8
	v_lshl_add_u32 v108, v105, 3, v8
	ds_read2_b64 v[22:25], v3 offset0:80 offset1:192
	v_sub_u32_e32 v1, v13, v1
	ds_read2_b64 v[26:29], v111 offset0:48 offset1:160
	v_sub_u32_e32 v4, v46, v4
	v_sub_u32_e32 v5, v47, v5
	ds_read_b64 v[56:57], v0
	ds_read_b64 v[58:59], v1
	ds_read_b64 v[70:71], v4
	ds_read_b64 v[81:82], v5
	ds_read2_b64 v[42:45], v112 offset0:16 offset1:128
	v_sub_u32_e32 v7, v49, v7
	ds_read_b64 v[83:84], v6
	ds_read_b64 v[85:86], v7
	;; [unrolled: 1-line block ×4, first 2 shown]
	ds_read_b64 v[113:114], v107 offset:15232
	s_waitcnt lgkmcnt(0)
	s_barrier
	ds_write_b128 v9, v[66:69]
	ds_write_b128 v10, v[61:64]
	ds_write_b128 v11, v[89:92]
	ds_write_b128 v12, v[93:96]
	ds_write_b128 v13, v[97:100]
	ds_write_b128 v46, v[30:33]
	ds_write_b128 v47, v[34:37]
	ds_write_b128 v48, v[38:41]
	ds_write_b128 v49, v[14:17]
	v_lshlrev_b32_e32 v9, 4, v103
	s_waitcnt lgkmcnt(0)
	s_barrier
	global_load_dwordx4 v[30:33], v9, s[8:9]
	v_lshlrev_b32_e32 v11, 1, v78
	v_lshlrev_b32_e32 v10, 1, v79
	;; [unrolled: 1-line block ×3, first 2 shown]
	ds_read_b64 v[61:62], v110
	ds_read2_b64 v[34:37], v2 offset0:112 offset1:224
	ds_read2_b64 v[38:41], v3 offset0:80 offset1:192
	;; [unrolled: 1-line block ×3, first 2 shown]
	ds_read_b64 v[63:64], v0
	ds_read_b64 v[65:66], v1
	ds_read_b64 v[67:68], v4
	ds_read_b64 v[77:78], v5
	ds_read2_b64 v[50:53], v112 offset0:16 offset1:128
	ds_read_b64 v[95:96], v6
	ds_read_b64 v[97:98], v7
	;; [unrolled: 1-line block ×4, first 2 shown]
	ds_read_b64 v[117:118], v107 offset:15232
	v_lshlrev_b32_e32 v17, 1, v104
	s_movk_i32 s0, 0xfc
	v_lshlrev_b32_e32 v16, 1, v106
	v_lshlrev_b32_e32 v15, 1, v105
	s_waitcnt vmcnt(0) lgkmcnt(0)
	s_barrier
	v_lshlrev_b32_e32 v14, 1, v74
	v_lshlrev_b32_e32 v13, 1, v75
	;; [unrolled: 1-line block ×3, first 2 shown]
	s_movk_i32 s1, 0x5fc
	s_mov_b32 s4, 0xe8584caa
	s_mov_b32 s5, 0x3febb67a
	;; [unrolled: 1-line block ×4, first 2 shown]
	s_movk_i32 s10, 0x900
	v_mul_f64 v[79:80], v[34:35], v[32:33]
	v_mul_f64 v[91:92], v[36:37], v[32:33]
	;; [unrolled: 1-line block ×8, first 2 shown]
	v_fma_f64 v[18:19], v[18:19], v[30:31], -v[79:80]
	v_mul_f64 v[79:80], v[38:39], v[32:33]
	v_fma_f64 v[20:21], v[20:21], v[30:31], -v[91:92]
	v_mul_f64 v[91:92], v[40:41], v[32:33]
	v_fma_f64 v[34:35], v[34:35], v[30:31], v[89:90]
	v_fma_f64 v[36:37], v[36:37], v[30:31], v[93:94]
	v_mul_f64 v[89:90], v[22:23], v[32:33]
	v_mul_f64 v[93:94], v[24:25], v[32:33]
	v_fma_f64 v[26:27], v[26:27], v[30:31], -v[119:120]
	v_fma_f64 v[22:23], v[22:23], v[30:31], -v[79:80]
	v_mul_f64 v[79:80], v[50:51], v[32:33]
	v_fma_f64 v[24:25], v[24:25], v[30:31], -v[91:92]
	v_mul_f64 v[91:92], v[52:53], v[32:33]
	v_mul_f64 v[119:120], v[117:118], v[32:33]
	v_fma_f64 v[38:39], v[38:39], v[30:31], v[89:90]
	v_fma_f64 v[40:41], v[40:41], v[30:31], v[93:94]
	v_fma_f64 v[28:29], v[28:29], v[30:31], -v[123:124]
	v_mul_f64 v[89:90], v[42:43], v[32:33]
	v_mul_f64 v[93:94], v[44:45], v[32:33]
	;; [unrolled: 1-line block ×3, first 2 shown]
	v_fma_f64 v[42:43], v[42:43], v[30:31], -v[79:80]
	v_add_f64 v[18:19], v[54:55], -v[18:19]
	v_fma_f64 v[44:45], v[44:45], v[30:31], -v[91:92]
	v_fma_f64 v[79:80], v[113:114], v[30:31], -v[119:120]
	v_fma_f64 v[46:47], v[46:47], v[30:31], v[121:122]
	v_fma_f64 v[48:49], v[48:49], v[30:31], v[125:126]
	;; [unrolled: 1-line block ×5, first 2 shown]
	v_add_f64 v[28:29], v[70:71], -v[28:29]
	v_add_f64 v[34:35], v[61:62], -v[34:35]
	;; [unrolled: 1-line block ×7, first 2 shown]
	v_fma_f64 v[32:33], v[54:55], 2.0, -v[18:19]
	v_add_f64 v[44:45], v[83:84], -v[44:45]
	v_add_f64 v[79:80], v[85:86], -v[79:80]
	;; [unrolled: 1-line block ×8, first 2 shown]
	v_fma_f64 v[30:31], v[70:71], 2.0, -v[28:29]
	v_and_or_b32 v71, v17, s0, v103
	v_fma_f64 v[54:55], v[61:62], 2.0, -v[34:35]
	v_fma_f64 v[61:62], v[101:102], 2.0, -v[20:21]
	;; [unrolled: 1-line block ×5, first 2 shown]
	v_add_f64 v[50:51], v[77:78], -v[50:51]
	v_fma_f64 v[69:70], v[81:82], 2.0, -v[42:43]
	v_lshl_add_u32 v71, v71, 3, v8
	s_movk_i32 s0, 0x1fc
	v_add_f64 v[52:53], v[95:96], -v[52:53]
	ds_write2_b64 v71, v[32:33], v[18:19] offset1:2
	v_and_or_b32 v18, v16, s0, v103
	s_movk_i32 s0, 0x3fc
	v_fma_f64 v[81:82], v[83:84], 2.0, -v[44:45]
	v_fma_f64 v[85:86], v[85:86], 2.0, -v[79:80]
	v_lshl_add_u32 v101, v18, 3, v8
	v_and_or_b32 v18, v15, s0, v103
	v_fma_f64 v[89:90], v[115:116], 2.0, -v[36:37]
	v_lshl_add_u32 v102, v18, 3, v8
	v_and_or_b32 v18, v14, s0, v103
	s_movk_i32 s0, 0x7fc
	v_fma_f64 v[91:92], v[99:100], 2.0, -v[38:39]
	v_lshl_add_u32 v113, v18, 3, v8
	v_and_or_b32 v18, v13, s0, v103
	v_fma_f64 v[63:64], v[63:64], 2.0, -v[40:41]
	v_lshl_add_u32 v114, v18, 3, v8
	v_and_or_b32 v18, v12, s1, v103
	;; [unrolled: 3-line block ×4, first 2 shown]
	v_fma_f64 v[77:78], v[77:78], 2.0, -v[50:51]
	ds_write2_b64 v101, v[61:62], v[20:21] offset1:2
	ds_write2_b64 v102, v[87:88], v[22:23] offset1:2
	;; [unrolled: 1-line block ×6, first 2 shown]
	v_lshl_add_u32 v42, v18, 3, v8
	v_and_or_b32 v18, v9, s0, v103
	v_fma_f64 v[83:84], v[95:96], 2.0, -v[52:53]
	v_lshl_add_u32 v43, v18, 3, v8
	v_fma_f64 v[95:96], v[97:98], 2.0, -v[93:94]
	ds_write2_b64 v42, v[81:82], v[44:45] offset1:2
	ds_write2_b64 v43, v[85:86], v[79:80] offset1:2
	s_waitcnt lgkmcnt(0)
	s_barrier
	ds_read_b64 v[56:57], v110
	ds_read2_b64 v[18:21], v2 offset0:112 offset1:224
	ds_read2_b64 v[22:25], v3 offset0:80 offset1:192
	;; [unrolled: 1-line block ×3, first 2 shown]
	ds_read_b64 v[58:59], v0
	ds_read_b64 v[61:62], v1
	;; [unrolled: 1-line block ×4, first 2 shown]
	ds_read2_b64 v[30:33], v112 offset0:16 offset1:128
	ds_read_b64 v[81:82], v6
	ds_read_b64 v[85:86], v7
	;; [unrolled: 1-line block ×4, first 2 shown]
	ds_read_b64 v[99:100], v107 offset:15232
	s_waitcnt lgkmcnt(0)
	s_barrier
	ds_write2_b64 v71, v[54:55], v[34:35] offset1:2
	ds_write2_b64 v101, v[89:90], v[36:37] offset1:2
	ds_write2_b64 v102, v[91:92], v[38:39] offset1:2
	ds_write2_b64 v113, v[63:64], v[40:41] offset1:2
	ds_write2_b64 v114, v[65:66], v[46:47] offset1:2
	ds_write2_b64 v115, v[67:68], v[48:49] offset1:2
	ds_write2_b64 v116, v[77:78], v[50:51] offset1:2
	ds_write2_b64 v42, v[83:84], v[52:53] offset1:2
	ds_write2_b64 v43, v[95:96], v[93:94] offset1:2
	v_and_b32_e32 v71, 3, v104
	v_lshlrev_b32_e32 v34, 4, v71
	s_waitcnt lgkmcnt(0)
	s_barrier
	global_load_dwordx4 v[34:37], v34, s[8:9] offset:32
	ds_read_b64 v[54:55], v110
	ds_read2_b64 v[38:41], v2 offset0:112 offset1:224
	ds_read2_b64 v[42:45], v3 offset0:80 offset1:192
	;; [unrolled: 1-line block ×3, first 2 shown]
	ds_read_b64 v[63:64], v0
	ds_read_b64 v[65:66], v1
	;; [unrolled: 1-line block ×4, first 2 shown]
	ds_read2_b64 v[50:53], v112 offset0:16 offset1:128
	ds_read_b64 v[95:96], v6
	ds_read_b64 v[101:102], v7
	;; [unrolled: 1-line block ×4, first 2 shown]
	ds_read_b64 v[117:118], v107 offset:15232
	s_movk_i32 s0, 0xf8
	s_waitcnt vmcnt(0) lgkmcnt(0)
	s_barrier
	s_movk_i32 s1, 0x5f8
	v_mul_f64 v[83:84], v[38:39], v[36:37]
	v_mul_f64 v[91:92], v[40:41], v[36:37]
	;; [unrolled: 1-line block ×8, first 2 shown]
	v_fma_f64 v[18:19], v[18:19], v[34:35], -v[83:84]
	v_fma_f64 v[20:21], v[20:21], v[34:35], -v[91:92]
	v_mul_f64 v[83:84], v[42:43], v[36:37]
	v_mul_f64 v[91:92], v[44:45], v[36:37]
	v_fma_f64 v[38:39], v[38:39], v[34:35], v[89:90]
	v_fma_f64 v[40:41], v[40:41], v[34:35], v[93:94]
	v_mul_f64 v[89:90], v[22:23], v[36:37]
	v_mul_f64 v[93:94], v[24:25], v[36:37]
	v_fma_f64 v[26:27], v[26:27], v[34:35], -v[119:120]
	v_mul_f64 v[119:120], v[117:118], v[36:37]
	v_fma_f64 v[22:23], v[22:23], v[34:35], -v[83:84]
	v_fma_f64 v[24:25], v[24:25], v[34:35], -v[91:92]
	v_mul_f64 v[83:84], v[50:51], v[36:37]
	v_mul_f64 v[91:92], v[52:53], v[36:37]
	v_fma_f64 v[42:43], v[42:43], v[34:35], v[89:90]
	v_fma_f64 v[44:45], v[44:45], v[34:35], v[93:94]
	v_mul_f64 v[89:90], v[30:31], v[36:37]
	v_mul_f64 v[93:94], v[32:33], v[36:37]
	;; [unrolled: 1-line block ×3, first 2 shown]
	v_add_f64 v[18:19], v[56:57], -v[18:19]
	v_fma_f64 v[28:29], v[28:29], v[34:35], -v[123:124]
	v_fma_f64 v[30:31], v[30:31], v[34:35], -v[83:84]
	;; [unrolled: 1-line block ×4, first 2 shown]
	v_fma_f64 v[46:47], v[46:47], v[34:35], v[121:122]
	v_fma_f64 v[48:49], v[48:49], v[34:35], v[125:126]
	;; [unrolled: 1-line block ×5, first 2 shown]
	v_add_f64 v[20:21], v[97:98], -v[20:21]
	v_fma_f64 v[36:37], v[56:57], 2.0, -v[18:19]
	v_add_f64 v[38:39], v[54:55], -v[38:39]
	v_add_f64 v[22:23], v[87:88], -v[22:23]
	;; [unrolled: 1-line block ×14, first 2 shown]
	v_fma_f64 v[56:57], v[97:98], 2.0, -v[20:21]
	v_add_f64 v[48:49], v[67:68], -v[48:49]
	v_and_or_b32 v97, v17, s0, v71
	v_add_f64 v[50:51], v[77:78], -v[50:51]
	v_lshl_add_u32 v99, v97, 3, v8
	s_movk_i32 s0, 0x1f8
	ds_write2_b64 v99, v[36:37], v[18:19] offset1:4
	v_and_or_b32 v18, v16, s0, v71
	s_movk_i32 s0, 0x3f8
	v_fma_f64 v[54:55], v[54:55], 2.0, -v[38:39]
	v_fma_f64 v[87:88], v[87:88], 2.0, -v[22:23]
	;; [unrolled: 1-line block ×8, first 2 shown]
	v_lshl_add_u32 v36, v18, 3, v8
	v_and_or_b32 v18, v15, s0, v71
	v_fma_f64 v[89:90], v[115:116], 2.0, -v[40:41]
	v_lshl_add_u32 v37, v18, 3, v8
	v_and_or_b32 v18, v14, s0, v71
	s_movk_i32 s0, 0x7f8
	v_fma_f64 v[91:92], v[113:114], 2.0, -v[42:43]
	v_lshl_add_u32 v100, v18, 3, v8
	v_and_or_b32 v18, v13, s0, v71
	v_fma_f64 v[63:64], v[63:64], 2.0, -v[44:45]
	v_fma_f64 v[93:94], v[95:96], 2.0, -v[52:53]
	;; [unrolled: 1-line block ×3, first 2 shown]
	v_lshl_add_u32 v101, v18, 3, v8
	v_and_or_b32 v18, v12, s1, v71
	v_fma_f64 v[65:66], v[65:66], 2.0, -v[46:47]
	v_lshl_add_u32 v102, v18, 3, v8
	v_and_or_b32 v18, v11, s0, v71
	v_fma_f64 v[67:68], v[67:68], 2.0, -v[48:49]
	;; [unrolled: 3-line block ×3, first 2 shown]
	v_lshl_add_u32 v113, v18, 3, v8
	v_and_or_b32 v18, v9, s0, v71
	v_lshl_add_u32 v71, v18, 3, v8
	ds_write2_b64 v36, v[56:57], v[20:21] offset1:4
	ds_write2_b64 v37, v[87:88], v[22:23] offset1:4
	;; [unrolled: 1-line block ×8, first 2 shown]
	s_waitcnt lgkmcnt(0)
	s_barrier
	ds_read_b64 v[56:57], v110
	ds_read2_b64 v[18:21], v2 offset0:112 offset1:224
	ds_read2_b64 v[22:25], v3 offset0:80 offset1:192
	;; [unrolled: 1-line block ×3, first 2 shown]
	ds_read_b64 v[58:59], v0
	ds_read_b64 v[61:62], v1
	;; [unrolled: 1-line block ×4, first 2 shown]
	ds_read2_b64 v[30:33], v112 offset0:16 offset1:128
	ds_read_b64 v[81:82], v6
	ds_read_b64 v[83:84], v7
	;; [unrolled: 1-line block ×4, first 2 shown]
	ds_read_b64 v[97:98], v107 offset:15232
	s_waitcnt lgkmcnt(0)
	s_barrier
	ds_write2_b64 v99, v[54:55], v[38:39] offset1:4
	ds_write2_b64 v36, v[89:90], v[40:41] offset1:4
	;; [unrolled: 1-line block ×9, first 2 shown]
	v_and_b32_e32 v71, 7, v104
	v_lshlrev_b32_e32 v34, 4, v71
	s_waitcnt lgkmcnt(0)
	s_barrier
	global_load_dwordx4 v[34:37], v34, s[8:9] offset:96
	ds_read_b64 v[54:55], v110
	ds_read2_b64 v[38:41], v2 offset0:112 offset1:224
	ds_read2_b64 v[42:45], v3 offset0:80 offset1:192
	;; [unrolled: 1-line block ×3, first 2 shown]
	ds_read_b64 v[63:64], v0
	ds_read_b64 v[65:66], v1
	;; [unrolled: 1-line block ×4, first 2 shown]
	ds_read2_b64 v[50:53], v112 offset0:16 offset1:128
	ds_read_b64 v[99:100], v6
	ds_read_b64 v[101:102], v7
	;; [unrolled: 1-line block ×4, first 2 shown]
	ds_read_b64 v[117:118], v107 offset:15232
	s_movk_i32 s0, 0xf0
	s_waitcnt vmcnt(0) lgkmcnt(0)
	s_barrier
	s_movk_i32 s1, 0x5f0
	v_mul_f64 v[95:96], v[20:21], v[36:37]
	v_mul_f64 v[89:90], v[38:39], v[36:37]
	;; [unrolled: 1-line block ×8, first 2 shown]
	v_fma_f64 v[40:41], v[40:41], v[34:35], v[95:96]
	v_mul_f64 v[95:96], v[24:25], v[36:37]
	v_fma_f64 v[18:19], v[18:19], v[34:35], -v[89:90]
	v_fma_f64 v[20:21], v[20:21], v[34:35], -v[93:94]
	v_mul_f64 v[89:90], v[42:43], v[36:37]
	v_mul_f64 v[93:94], v[44:45], v[36:37]
	v_fma_f64 v[38:39], v[38:39], v[34:35], v[91:92]
	v_mul_f64 v[91:92], v[22:23], v[36:37]
	v_fma_f64 v[26:27], v[26:27], v[34:35], -v[119:120]
	v_fma_f64 v[44:45], v[44:45], v[34:35], v[95:96]
	v_mul_f64 v[95:96], v[32:33], v[36:37]
	v_mul_f64 v[119:120], v[117:118], v[36:37]
	v_fma_f64 v[22:23], v[22:23], v[34:35], -v[89:90]
	v_fma_f64 v[24:25], v[24:25], v[34:35], -v[93:94]
	v_mul_f64 v[89:90], v[50:51], v[36:37]
	v_mul_f64 v[93:94], v[52:53], v[36:37]
	v_fma_f64 v[42:43], v[42:43], v[34:35], v[91:92]
	v_mul_f64 v[91:92], v[30:31], v[36:37]
	v_mul_f64 v[36:37], v[97:98], v[36:37]
	v_fma_f64 v[52:53], v[52:53], v[34:35], v[95:96]
	v_add_f64 v[18:19], v[56:57], -v[18:19]
	v_fma_f64 v[28:29], v[28:29], v[34:35], -v[123:124]
	v_fma_f64 v[30:31], v[30:31], v[34:35], -v[89:90]
	v_fma_f64 v[32:33], v[32:33], v[34:35], -v[93:94]
	v_fma_f64 v[89:90], v[97:98], v[34:35], -v[119:120]
	v_fma_f64 v[46:47], v[46:47], v[34:35], v[121:122]
	v_fma_f64 v[48:49], v[48:49], v[34:35], v[125:126]
	;; [unrolled: 1-line block ×4, first 2 shown]
	v_add_f64 v[52:53], v[99:100], -v[52:53]
	v_fma_f64 v[36:37], v[56:57], 2.0, -v[18:19]
	v_add_f64 v[38:39], v[54:55], -v[38:39]
	v_add_f64 v[20:21], v[87:88], -v[20:21]
	;; [unrolled: 1-line block ×15, first 2 shown]
	v_and_or_b32 v97, v17, s0, v71
	v_add_f64 v[50:51], v[77:78], -v[50:51]
	v_fma_f64 v[93:94], v[99:100], 2.0, -v[52:53]
	v_lshl_add_u32 v99, v97, 3, v8
	s_movk_i32 s0, 0x1f0
	ds_write2_b64 v99, v[36:37], v[18:19] offset1:8
	v_and_or_b32 v18, v16, s0, v71
	s_movk_i32 s0, 0x3f0
	v_fma_f64 v[54:55], v[54:55], 2.0, -v[38:39]
	v_fma_f64 v[56:57], v[87:88], 2.0, -v[20:21]
	;; [unrolled: 1-line block ×9, first 2 shown]
	v_lshl_add_u32 v36, v18, 3, v8
	v_and_or_b32 v18, v15, s0, v71
	v_fma_f64 v[87:88], v[115:116], 2.0, -v[40:41]
	v_lshl_add_u32 v37, v18, 3, v8
	v_and_or_b32 v18, v14, s0, v71
	s_movk_i32 s0, 0x7f0
	v_fma_f64 v[91:92], v[113:114], 2.0, -v[42:43]
	v_lshl_add_u32 v100, v18, 3, v8
	v_and_or_b32 v18, v13, s0, v71
	v_fma_f64 v[63:64], v[63:64], 2.0, -v[44:45]
	v_fma_f64 v[95:96], v[101:102], 2.0, -v[34:35]
	v_lshl_add_u32 v101, v18, 3, v8
	v_and_or_b32 v18, v12, s1, v71
	v_fma_f64 v[65:66], v[65:66], 2.0, -v[46:47]
	v_lshl_add_u32 v102, v18, 3, v8
	v_and_or_b32 v18, v11, s0, v71
	;; [unrolled: 3-line block ×4, first 2 shown]
	v_lshl_add_u32 v71, v18, 3, v8
	ds_write2_b64 v36, v[56:57], v[20:21] offset1:8
	ds_write2_b64 v37, v[85:86], v[22:23] offset1:8
	;; [unrolled: 1-line block ×8, first 2 shown]
	s_waitcnt lgkmcnt(0)
	s_barrier
	ds_read_b64 v[56:57], v110
	ds_read2_b64 v[18:21], v2 offset0:112 offset1:224
	ds_read2_b64 v[22:25], v3 offset0:80 offset1:192
	;; [unrolled: 1-line block ×3, first 2 shown]
	ds_read_b64 v[58:59], v0
	ds_read_b64 v[61:62], v1
	;; [unrolled: 1-line block ×4, first 2 shown]
	ds_read2_b64 v[30:33], v112 offset0:16 offset1:128
	ds_read_b64 v[81:82], v6
	ds_read_b64 v[83:84], v7
	;; [unrolled: 1-line block ×4, first 2 shown]
	ds_read_b64 v[97:98], v107 offset:15232
	s_waitcnt lgkmcnt(0)
	s_barrier
	ds_write2_b64 v99, v[54:55], v[38:39] offset1:8
	ds_write2_b64 v36, v[87:88], v[40:41] offset1:8
	;; [unrolled: 1-line block ×9, first 2 shown]
	v_and_b32_e32 v71, 15, v104
	v_lshlrev_b32_e32 v34, 4, v71
	s_waitcnt lgkmcnt(0)
	s_barrier
	global_load_dwordx4 v[34:37], v34, s[8:9] offset:224
	ds_read_b64 v[54:55], v110
	ds_read2_b64 v[38:41], v2 offset0:112 offset1:224
	ds_read2_b64 v[42:45], v3 offset0:80 offset1:192
	;; [unrolled: 1-line block ×3, first 2 shown]
	ds_read_b64 v[63:64], v0
	ds_read_b64 v[65:66], v1
	;; [unrolled: 1-line block ×4, first 2 shown]
	ds_read2_b64 v[50:53], v112 offset0:16 offset1:128
	ds_read_b64 v[99:100], v6
	ds_read_b64 v[101:102], v7
	ds_read_b64 v[113:114], v108
	ds_read_b64 v[115:116], v109
	ds_read_b64 v[117:118], v107 offset:15232
	s_movk_i32 s0, 0xe0
	v_and_or_b32 v17, v17, s0, v71
	s_movk_i32 s0, 0x1e0
	v_lshl_add_u32 v103, v17, 3, v8
	v_and_or_b32 v16, v16, s0, v71
	s_movk_i32 s0, 0x3e0
	s_waitcnt vmcnt(0) lgkmcnt(0)
	s_barrier
	v_and_or_b32 v15, v15, s0, v71
	v_and_or_b32 v14, v14, s0, v71
	s_movk_i32 s0, 0x7e0
	v_and_or_b32 v13, v13, s0, v71
	s_movk_i32 s1, 0x5e0
	v_and_or_b32 v12, v12, s1, v71
	v_and_or_b32 v11, v11, s0, v71
	;; [unrolled: 1-line block ×4, first 2 shown]
	v_and_b32_e32 v71, 31, v104
	s_movk_i32 s0, 0x60
	v_mul_f64 v[87:88], v[38:39], v[36:37]
	v_mul_f64 v[93:94], v[40:41], v[36:37]
	;; [unrolled: 1-line block ×8, first 2 shown]
	v_fma_f64 v[18:19], v[18:19], v[34:35], -v[87:88]
	v_fma_f64 v[20:21], v[20:21], v[34:35], -v[93:94]
	v_mul_f64 v[87:88], v[42:43], v[36:37]
	v_mul_f64 v[93:94], v[44:45], v[36:37]
	v_fma_f64 v[38:39], v[38:39], v[34:35], v[91:92]
	v_mul_f64 v[91:92], v[22:23], v[36:37]
	v_fma_f64 v[40:41], v[40:41], v[34:35], v[95:96]
	v_mul_f64 v[95:96], v[24:25], v[36:37]
	v_fma_f64 v[26:27], v[26:27], v[34:35], -v[119:120]
	v_mul_f64 v[119:120], v[117:118], v[36:37]
	v_fma_f64 v[22:23], v[22:23], v[34:35], -v[87:88]
	v_fma_f64 v[24:25], v[24:25], v[34:35], -v[93:94]
	v_mul_f64 v[87:88], v[50:51], v[36:37]
	v_mul_f64 v[93:94], v[52:53], v[36:37]
	v_fma_f64 v[42:43], v[42:43], v[34:35], v[91:92]
	v_fma_f64 v[28:29], v[28:29], v[34:35], -v[123:124]
	v_mul_f64 v[91:92], v[30:31], v[36:37]
	v_fma_f64 v[44:45], v[44:45], v[34:35], v[95:96]
	v_mul_f64 v[95:96], v[32:33], v[36:37]
	v_mul_f64 v[36:37], v[97:98], v[36:37]
	v_fma_f64 v[30:31], v[30:31], v[34:35], -v[87:88]
	v_fma_f64 v[32:33], v[32:33], v[34:35], -v[93:94]
	;; [unrolled: 1-line block ×3, first 2 shown]
	v_add_f64 v[18:19], v[56:57], -v[18:19]
	v_add_f64 v[20:21], v[89:90], -v[20:21]
	v_fma_f64 v[46:47], v[46:47], v[34:35], v[121:122]
	v_add_f64 v[22:23], v[85:86], -v[22:23]
	v_add_f64 v[24:25], v[58:59], -v[24:25]
	v_fma_f64 v[48:49], v[48:49], v[34:35], v[125:126]
	v_add_f64 v[26:27], v[61:62], -v[26:27]
	v_fma_f64 v[50:51], v[50:51], v[34:35], v[91:92]
	;; [unrolled: 2-line block ×3, first 2 shown]
	v_add_f64 v[30:31], v[79:80], -v[30:31]
	v_add_f64 v[32:33], v[81:82], -v[32:33]
	;; [unrolled: 1-line block ×3, first 2 shown]
	v_fma_f64 v[34:35], v[117:118], v[34:35], v[36:37]
	v_add_f64 v[87:88], v[83:84], -v[87:88]
	v_add_f64 v[40:41], v[115:116], -v[40:41]
	v_fma_f64 v[36:37], v[56:57], 2.0, -v[18:19]
	v_add_f64 v[42:43], v[113:114], -v[42:43]
	v_add_f64 v[44:45], v[63:64], -v[44:45]
	v_fma_f64 v[56:57], v[89:90], 2.0, -v[20:21]
	v_add_f64 v[46:47], v[65:66], -v[46:47]
	v_fma_f64 v[85:86], v[85:86], 2.0, -v[22:23]
	v_fma_f64 v[58:59], v[58:59], 2.0, -v[24:25]
	;; [unrolled: 1-line block ×3, first 2 shown]
	v_add_f64 v[48:49], v[67:68], -v[48:49]
	v_add_f64 v[50:51], v[77:78], -v[50:51]
	v_fma_f64 v[69:70], v[69:70], 2.0, -v[28:29]
	v_add_f64 v[52:53], v[99:100], -v[52:53]
	v_fma_f64 v[79:80], v[79:80], 2.0, -v[30:31]
	v_fma_f64 v[81:82], v[81:82], 2.0, -v[32:33]
	;; [unrolled: 1-line block ×3, first 2 shown]
	v_add_f64 v[34:35], v[101:102], -v[34:35]
	v_fma_f64 v[83:84], v[83:84], 2.0, -v[87:88]
	v_fma_f64 v[89:90], v[115:116], 2.0, -v[40:41]
	;; [unrolled: 1-line block ×3, first 2 shown]
	ds_write2_b64 v103, v[36:37], v[18:19] offset1:16
	v_lshl_add_u32 v36, v16, 3, v8
	v_fma_f64 v[63:64], v[63:64], 2.0, -v[44:45]
	ds_write2_b64 v36, v[56:57], v[20:21] offset1:16
	v_lshl_add_u32 v37, v15, 3, v8
	v_lshl_add_u32 v56, v14, 3, v8
	v_fma_f64 v[65:66], v[65:66], 2.0, -v[46:47]
	ds_write2_b64 v37, v[85:86], v[22:23] offset1:16
	ds_write2_b64 v56, v[58:59], v[24:25] offset1:16
	v_lshl_add_u32 v25, v13, 3, v8
	v_fma_f64 v[67:68], v[67:68], 2.0, -v[48:49]
	ds_write2_b64 v25, v[61:62], v[26:27] offset1:16
	v_lshl_add_u32 v26, v12, 3, v8
	v_fma_f64 v[77:78], v[77:78], 2.0, -v[50:51]
	ds_write2_b64 v26, v[69:70], v[28:29] offset1:16
	v_lshl_add_u32 v27, v11, 3, v8
	v_lshl_add_u32 v28, v10, 3, v8
	v_and_b32_e32 v59, 31, v106
	v_fma_f64 v[93:94], v[99:100], 2.0, -v[52:53]
	ds_write2_b64 v27, v[79:80], v[30:31] offset1:16
	ds_write2_b64 v28, v[81:82], v[32:33] offset1:16
	v_lshl_add_u32 v29, v9, 3, v8
	v_lshlrev_b32_e32 v33, 5, v59
	v_fma_f64 v[95:96], v[101:102], 2.0, -v[34:35]
	ds_write2_b64 v29, v[83:84], v[87:88] offset1:16
	s_waitcnt lgkmcnt(0)
	s_barrier
	ds_read_b64 v[57:58], v110
	ds_read2_b64 v[9:12], v3 offset0:80 offset1:192
	ds_read2_b64 v[13:16], v111 offset0:48 offset1:160
	ds_read_b64 v[69:70], v6
	ds_read_b64 v[81:82], v7
	ds_read2_b64 v[17:20], v2 offset0:112 offset1:224
	ds_read2_b64 v[21:24], v112 offset0:16 offset1:128
	ds_read_b64 v[83:84], v0
	ds_read_b64 v[85:86], v1
	;; [unrolled: 1-line block ×6, first 2 shown]
	ds_read_b64 v[113:114], v107 offset:15232
	s_waitcnt lgkmcnt(0)
	s_barrier
	ds_write2_b64 v103, v[54:55], v[38:39] offset1:16
	ds_write2_b64 v36, v[89:90], v[40:41] offset1:16
	;; [unrolled: 1-line block ×9, first 2 shown]
	s_waitcnt lgkmcnt(0)
	s_barrier
	global_load_dwordx4 v[25:28], v33, s[8:9] offset:480
	global_load_dwordx4 v[29:32], v33, s[8:9] offset:496
	v_lshlrev_b32_e32 v49, 5, v71
	v_and_b32_e32 v103, 31, v74
	global_load_dwordx4 v[33:36], v49, s[8:9] offset:480
	v_lshlrev_b32_e32 v50, 5, v103
	global_load_dwordx4 v[37:40], v50, s[8:9] offset:480
	global_load_dwordx4 v[41:44], v49, s[8:9] offset:496
	;; [unrolled: 1-line block ×3, first 2 shown]
	v_and_b32_e32 v121, 31, v76
	v_lshlrev_b32_e32 v61, 5, v121
	global_load_dwordx4 v[49:52], v61, s[8:9] offset:480
	global_load_dwordx4 v[53:56], v61, s[8:9] offset:496
	ds_read_b64 v[89:90], v6
	ds_read_b64 v[91:92], v110
	;; [unrolled: 1-line block ×3, first 2 shown]
	ds_read2_b64 v[61:64], v111 offset0:48 offset1:160
	ds_read2_b64 v[65:68], v3 offset0:80 offset1:192
	;; [unrolled: 1-line block ×3, first 2 shown]
	ds_read_b64 v[115:116], v5
	ds_read_b64 v[119:120], v4
	s_waitcnt vmcnt(7) lgkmcnt(7)
	v_mul_f64 v[95:96], v[89:90], v[27:28]
	v_mul_f64 v[27:28], v[69:70], v[27:28]
	s_waitcnt vmcnt(6) lgkmcnt(4)
	v_mul_f64 v[117:118], v[61:62], v[31:32]
	v_mul_f64 v[31:32], v[13:14], v[31:32]
	v_fma_f64 v[69:70], v[69:70], v[25:26], -v[95:96]
	v_fma_f64 v[25:26], v[89:90], v[25:26], v[27:28]
	s_waitcnt vmcnt(4) lgkmcnt(2)
	v_mul_f64 v[27:28], v[77:78], v[39:40]
	v_mul_f64 v[39:40], v[17:18], v[39:40]
	v_fma_f64 v[13:14], v[13:14], v[29:30], -v[117:118]
	v_fma_f64 v[29:30], v[61:62], v[29:30], v[31:32]
	v_mul_f64 v[61:62], v[93:94], v[35:36]
	v_mul_f64 v[89:90], v[79:80], v[35:36]
	s_waitcnt lgkmcnt(1)
	v_mul_f64 v[95:96], v[115:116], v[35:36]
	v_mul_f64 v[31:32], v[87:88], v[35:36]
	v_fma_f64 v[27:28], v[17:18], v[37:38], -v[27:28]
	v_fma_f64 v[37:38], v[77:78], v[37:38], v[39:40]
	s_waitcnt vmcnt(3)
	v_mul_f64 v[39:40], v[67:68], v[43:44]
	v_mul_f64 v[77:78], v[63:64], v[43:44]
	v_fma_f64 v[61:62], v[81:82], v[33:34], -v[61:62]
	v_mul_f64 v[81:82], v[81:82], v[35:36]
	v_mul_f64 v[35:36], v[19:20], v[35:36]
	v_fma_f64 v[89:90], v[19:20], v[33:34], -v[89:90]
	ds_read2_b64 v[17:20], v112 offset0:16 offset1:128
	v_fma_f64 v[87:88], v[87:88], v[33:34], -v[95:96]
	v_fma_f64 v[31:32], v[115:116], v[33:34], v[31:32]
	v_fma_f64 v[39:40], v[11:12], v[41:42], -v[39:40]
	v_fma_f64 v[77:78], v[15:16], v[41:42], -v[77:78]
	v_mul_f64 v[15:16], v[15:16], v[43:44]
	v_mul_f64 v[11:12], v[11:12], v[43:44]
	v_fma_f64 v[81:82], v[93:94], v[33:34], v[81:82]
	s_waitcnt vmcnt(2) lgkmcnt(0)
	v_mul_f64 v[93:94], v[17:18], v[47:48]
	v_fma_f64 v[33:34], v[79:80], v[33:34], v[35:36]
	v_mul_f64 v[35:36], v[21:22], v[47:48]
	v_mul_f64 v[47:48], v[19:20], v[43:44]
	;; [unrolled: 1-line block ×3, first 2 shown]
	v_fma_f64 v[15:16], v[63:64], v[41:42], v[15:16]
	v_fma_f64 v[11:12], v[67:68], v[41:42], v[11:12]
	ds_read_b64 v[63:64], v108
	ds_read_b64 v[79:80], v109
	ds_read_b64 v[95:96], v107 offset:15232
	v_fma_f64 v[21:22], v[21:22], v[45:46], -v[93:94]
	v_add_f64 v[67:68], v[57:58], v[87:88]
	v_fma_f64 v[17:18], v[17:18], v[45:46], v[35:36]
	v_fma_f64 v[23:24], v[23:24], v[41:42], -v[47:48]
	v_fma_f64 v[19:20], v[19:20], v[41:42], v[43:44]
	s_waitcnt vmcnt(1)
	v_mul_f64 v[35:36], v[65:66], v[51:52]
	v_add_f64 v[41:42], v[87:88], v[39:40]
	v_mul_f64 v[43:44], v[9:10], v[51:52]
	s_waitcnt vmcnt(0) lgkmcnt(0)
	v_mul_f64 v[45:46], v[95:96], v[55:56]
	v_mul_f64 v[47:48], v[113:114], v[55:56]
	ds_read_b64 v[51:52], v0
	ds_read_b64 v[55:56], v1
	s_waitcnt lgkmcnt(0)
	s_barrier
	v_fma_f64 v[9:10], v[9:10], v[49:50], -v[35:36]
	v_fma_f64 v[35:36], v[41:42], -0.5, v[57:58]
	v_add_f64 v[41:42], v[31:32], -v[11:12]
	v_fma_f64 v[43:44], v[65:66], v[49:50], v[43:44]
	v_add_f64 v[49:50], v[31:32], v[11:12]
	v_add_f64 v[31:32], v[91:92], v[31:32]
	;; [unrolled: 1-line block ×3, first 2 shown]
	v_fma_f64 v[45:46], v[113:114], v[53:54], -v[45:46]
	v_fma_f64 v[47:48], v[95:96], v[53:54], v[47:48]
	v_add_f64 v[53:54], v[67:68], v[39:40]
	v_fma_f64 v[57:58], v[41:42], s[4:5], v[35:36]
	v_fma_f64 v[35:36], v[41:42], s[6:7], v[35:36]
	v_add_f64 v[41:42], v[101:102], v[69:70]
	v_add_f64 v[31:32], v[31:32], v[11:12]
	;; [unrolled: 1-line block ×3, first 2 shown]
	v_fma_f64 v[49:50], v[49:50], -0.5, v[91:92]
	v_add_f64 v[39:40], v[87:88], -v[39:40]
	v_fma_f64 v[65:66], v[65:66], -0.5, v[101:102]
	v_add_f64 v[67:68], v[25:26], -v[29:30]
	v_add_f64 v[25:26], v[79:80], v[25:26]
	v_add_f64 v[41:42], v[41:42], v[13:14]
	v_add_f64 v[13:14], v[69:70], -v[13:14]
	v_fma_f64 v[11:12], v[11:12], -0.5, v[79:80]
	v_add_f64 v[79:80], v[81:82], -v[15:16]
	v_fma_f64 v[87:88], v[39:40], s[6:7], v[49:50]
	v_fma_f64 v[39:40], v[39:40], s[4:5], v[49:50]
	v_add_f64 v[49:50], v[61:62], v[77:78]
	v_fma_f64 v[69:70], v[67:68], s[4:5], v[65:66]
	v_fma_f64 v[65:66], v[67:68], s[6:7], v[65:66]
	v_add_f64 v[67:68], v[99:100], v[61:62]
	;; [unrolled: 3-line block ×3, first 2 shown]
	v_add_f64 v[25:26], v[25:26], v[29:30]
	v_add_f64 v[29:30], v[81:82], v[15:16]
	v_fma_f64 v[49:50], v[49:50], -0.5, v[99:100]
	v_add_f64 v[81:82], v[63:64], v[81:82]
	v_add_f64 v[11:12], v[67:68], v[77:78]
	v_add_f64 v[61:62], v[61:62], -v[77:78]
	v_add_f64 v[77:78], v[83:84], v[27:28]
	v_fma_f64 v[13:14], v[13:14], -0.5, v[83:84]
	v_add_f64 v[83:84], v[89:90], v[23:24]
	v_fma_f64 v[29:30], v[29:30], -0.5, v[63:64]
	v_fma_f64 v[63:64], v[79:80], s[4:5], v[49:50]
	v_fma_f64 v[49:50], v[79:80], s[6:7], v[49:50]
	v_add_f64 v[67:68], v[81:82], v[15:16]
	v_add_f64 v[15:16], v[37:38], v[17:18]
	v_add_f64 v[79:80], v[37:38], -v[17:18]
	v_add_f64 v[37:38], v[51:52], v[37:38]
	v_add_f64 v[27:28], v[27:28], -v[21:22]
	v_add_f64 v[21:22], v[77:78], v[21:22]
	v_fma_f64 v[77:78], v[83:84], -0.5, v[85:86]
	v_add_f64 v[83:84], v[33:34], -v[19:20]
	v_fma_f64 v[81:82], v[61:62], s[6:7], v[29:30]
	v_fma_f64 v[29:30], v[61:62], s[4:5], v[29:30]
	v_fma_f64 v[15:16], v[15:16], -0.5, v[51:52]
	v_add_f64 v[61:62], v[85:86], v[89:90]
	v_add_f64 v[37:38], v[37:38], v[17:18]
	;; [unrolled: 1-line block ×3, first 2 shown]
	v_fma_f64 v[51:52], v[79:80], s[4:5], v[13:14]
	v_fma_f64 v[85:86], v[83:84], s[4:5], v[77:78]
	;; [unrolled: 1-line block ×3, first 2 shown]
	v_add_f64 v[83:84], v[43:44], v[47:48]
	v_fma_f64 v[13:14], v[79:80], s[6:7], v[13:14]
	v_fma_f64 v[79:80], v[27:28], s[6:7], v[15:16]
	;; [unrolled: 1-line block ×3, first 2 shown]
	v_add_f64 v[15:16], v[61:62], v[23:24]
	v_add_f64 v[61:62], v[9:10], v[45:46]
	;; [unrolled: 1-line block ×3, first 2 shown]
	v_fma_f64 v[17:18], v[17:18], -0.5, v[55:56]
	v_add_f64 v[23:24], v[89:90], -v[23:24]
	v_add_f64 v[55:56], v[97:98], v[9:10]
	v_add_f64 v[89:90], v[43:44], -v[47:48]
	v_add_f64 v[43:44], v[119:120], v[43:44]
	v_fma_f64 v[83:84], v[83:84], -0.5, v[119:120]
	v_add_f64 v[9:10], v[9:10], -v[45:46]
	v_fma_f64 v[61:62], v[61:62], -0.5, v[97:98]
	v_fma_f64 v[95:96], v[23:24], s[6:7], v[17:18]
	v_fma_f64 v[97:98], v[23:24], s[4:5], v[17:18]
	v_add_f64 v[17:18], v[55:56], v[45:46]
	v_add_f64 v[43:44], v[43:44], v[47:48]
	;; [unrolled: 1-line block ×3, first 2 shown]
	v_fma_f64 v[45:46], v[9:10], s[6:7], v[83:84]
	v_fma_f64 v[47:48], v[9:10], s[4:5], v[83:84]
	v_lshrrev_b32_e32 v10, 5, v106
	v_mul_lo_u32 v10, v10, s0
	v_lshrrev_b32_e32 v9, 5, v104
	v_mul_u32_u24_e32 v9, 0x60, v9
	v_or_b32_e32 v9, v9, v71
	v_lshl_add_u32 v55, v9, 3, v8
	v_or_b32_e32 v9, v10, v59
	v_lshrrev_b32_e32 v10, 5, v105
	v_mul_lo_u32 v10, v10, s0
	ds_write2_b64 v55, v[53:54], v[57:58] offset1:32
	ds_write_b64 v55, v[35:36] offset:512
	v_lshl_add_u32 v35, v9, 3, v8
	v_fma_f64 v[19:20], v[89:90], s[4:5], v[61:62]
	v_or_b32_e32 v9, v10, v71
	v_lshrrev_b32_e32 v10, 5, v74
	v_mul_lo_u32 v10, v10, s0
	v_lshl_add_u32 v36, v9, 3, v8
	v_fma_f64 v[23:24], v[89:90], s[6:7], v[61:62]
	ds_write2_b64 v35, v[41:42], v[69:70] offset1:32
	ds_write_b64 v35, v[65:66] offset:512
	v_or_b32_e32 v9, v10, v103
	v_lshrrev_b32_e32 v10, 5, v75
	v_mul_lo_u32 v10, v10, s0
	v_lshl_add_u32 v41, v9, 3, v8
	ds_write2_b64 v36, v[11:12], v[63:64] offset1:32
	ds_write_b64 v36, v[49:50] offset:512
	ds_write2_b64 v41, v[21:22], v[51:52] offset1:32
	ds_write_b64 v41, v[13:14] offset:512
	v_or_b32_e32 v9, v10, v71
	v_lshrrev_b32_e32 v10, 5, v76
	v_mul_lo_u32 v10, v10, s0
	v_lshl_add_u32 v42, v9, 3, v8
	ds_write2_b64 v42, v[15:16], v[85:86] offset1:32
	ds_write_b64 v42, v[77:78] offset:512
	v_cmp_gt_u32_e64 s[0:1], s0, v104
	v_or_b32_e32 v9, v10, v121
	v_lshl_add_u32 v49, v9, 3, v8
	ds_write2_b64 v49, v[17:18], v[19:20] offset1:32
	ds_write_b64 v49, v[23:24] offset:512
	v_add_u32_e32 v24, 0xffffffa0, v104
	v_cndmask_b32_e64 v135, v24, v104, s[0:1]
	s_waitcnt lgkmcnt(0)
	s_barrier
	ds_read_b64 v[121:122], v110
	ds_read2_b64 v[8:11], v3 offset0:80 offset1:192
	ds_read2_b64 v[12:15], v111 offset0:48 offset1:160
	ds_read_b64 v[61:62], v6
	ds_read_b64 v[99:100], v7
	ds_read2_b64 v[16:19], v2 offset0:112 offset1:224
	ds_read2_b64 v[20:23], v112 offset0:16 offset1:128
	ds_read_b64 v[123:124], v0
	ds_read_b64 v[125:126], v1
	;; [unrolled: 1-line block ×6, first 2 shown]
	ds_read_b64 v[133:134], v107 offset:15232
	s_waitcnt lgkmcnt(0)
	s_barrier
	ds_write2_b64 v55, v[31:32], v[87:88] offset1:32
	ds_write_b64 v55, v[39:40] offset:512
	ds_write2_b64 v35, v[25:26], v[91:92] offset1:32
	ds_write_b64 v35, v[93:94] offset:512
	;; [unrolled: 2-line block ×6, first 2 shown]
	v_lshlrev_b32_e32 v24, 1, v135
	v_mov_b32_e32 v25, 0
	v_lshlrev_b64 v[24:25], 4, v[24:25]
	v_mov_b32_e32 v26, s9
	v_add_co_u32_e64 v24, s[0:1], s8, v24
	v_addc_co_u32_e64 v25, s[0:1], v26, v25, s[0:1]
	s_movk_i32 s0, 0xab
	v_mul_lo_u16_sdwa v26, v106, s0 dst_sel:DWORD dst_unused:UNUSED_PAD src0_sel:BYTE_0 src1_sel:DWORD
	s_waitcnt lgkmcnt(0)
	s_barrier
	v_lshrrev_b16_e32 v136, 14, v26
	global_load_dwordx4 v[26:29], v[24:25], off offset:1504
	v_mul_lo_u16_e32 v30, 0x60, v136
	v_sub_u16_e32 v137, v106, v30
	v_mov_b32_e32 v30, 5
	v_lshlrev_b32_sdwa v46, v30, v137 dst_sel:DWORD dst_unused:UNUSED_PAD src0_sel:DWORD src1_sel:BYTE_0
	global_load_dwordx4 v[34:37], v46, s[8:9] offset:1504
	global_load_dwordx4 v[30:33], v[24:25], off offset:1520
	s_mov_b32 s0, 0xaaab
	v_mul_u32_u24_sdwa v24, v105, s0 dst_sel:DWORD dst_unused:UNUSED_PAD src0_sel:WORD_0 src1_sel:DWORD
	v_lshrrev_b32_e32 v138, 22, v24
	v_mul_lo_u16_e32 v24, 0x60, v138
	v_sub_u16_e32 v139, v105, v24
	v_lshlrev_b32_e32 v24, 5, v139
	global_load_dwordx4 v[38:41], v24, s[8:9] offset:1504
	global_load_dwordx4 v[42:45], v46, s[8:9] offset:1520
	;; [unrolled: 1-line block ×3, first 2 shown]
	v_mul_u32_u24_sdwa v24, v74, s0 dst_sel:DWORD dst_unused:UNUSED_PAD src0_sel:WORD_0 src1_sel:DWORD
	v_lshrrev_b32_e32 v140, 22, v24
	v_mul_lo_u16_e32 v24, 0x60, v140
	v_sub_u16_e32 v141, v74, v24
	v_lshlrev_b32_e32 v24, 5, v141
	global_load_dwordx4 v[52:55], v24, s[8:9] offset:1520
	global_load_dwordx4 v[56:59], v24, s[8:9] offset:1504
	v_mul_u32_u24_sdwa v24, v75, s0 dst_sel:DWORD dst_unused:UNUSED_PAD src0_sel:WORD_0 src1_sel:DWORD
	v_lshrrev_b32_e32 v142, 22, v24
	v_mul_lo_u16_e32 v24, 0x60, v142
	v_sub_u16_e32 v143, v75, v24
	v_lshlrev_b32_e32 v24, 5, v143
	global_load_dwordx4 v[68:71], v24, s[8:9] offset:1504
	global_load_dwordx4 v[84:87], v24, s[8:9] offset:1520
	v_mul_u32_u24_sdwa v24, v76, s0 dst_sel:DWORD dst_unused:UNUSED_PAD src0_sel:WORD_0 src1_sel:DWORD
	v_lshrrev_b32_e32 v144, 22, v24
	v_mul_lo_u16_e32 v24, 0x60, v144
	v_sub_u16_e32 v145, v76, v24
	v_lshlrev_b32_e32 v24, 5, v145
	global_load_dwordx4 v[113:116], v24, s[8:9] offset:1504
	global_load_dwordx4 v[117:120], v24, s[8:9] offset:1520
	ds_read_b64 v[46:47], v5
	ds_read_b64 v[24:25], v4
	;; [unrolled: 1-line block ×3, first 2 shown]
	ds_read2_b64 v[3:6], v3 offset0:80 offset1:192
	ds_read_b64 v[82:83], v7
	ds_read2_b64 v[78:81], v111 offset0:48 offset1:160
	ds_read_b64 v[102:103], v110
	s_movk_i32 s0, 0x5f
	v_cmp_lt_u32_e64 s[0:1], s0, v104
	s_waitcnt vmcnt(11) lgkmcnt(6)
	v_mul_f64 v[65:66], v[46:47], v[28:29]
	v_mul_f64 v[28:29], v[63:64], v[28:29]
	s_waitcnt vmcnt(10) lgkmcnt(4)
	v_mul_f64 v[88:89], v[74:75], v[36:37]
	s_waitcnt vmcnt(9) lgkmcnt(3)
	v_mul_f64 v[90:91], v[5:6], v[32:33]
	v_mul_f64 v[36:37], v[61:62], v[36:37]
	v_fma_f64 v[64:65], v[63:64], v[26:27], -v[65:66]
	v_fma_f64 v[76:77], v[46:47], v[26:27], v[28:29]
	v_mul_f64 v[26:27], v[10:11], v[32:33]
	s_waitcnt vmcnt(8) lgkmcnt(2)
	v_mul_f64 v[28:29], v[82:83], v[40:41]
	v_mul_f64 v[32:33], v[99:100], v[40:41]
	v_fma_f64 v[46:47], v[61:62], v[34:35], -v[88:89]
	v_fma_f64 v[88:89], v[10:11], v[30:31], -v[90:91]
	s_waitcnt vmcnt(7) lgkmcnt(1)
	v_mul_f64 v[10:11], v[78:79], v[44:45]
	v_fma_f64 v[66:67], v[74:75], v[34:35], v[36:37]
	v_fma_f64 v[96:97], v[5:6], v[30:31], v[26:27]
	v_mul_f64 v[5:6], v[12:13], v[44:45]
	s_waitcnt vmcnt(6)
	v_mul_f64 v[26:27], v[80:81], v[50:51]
	v_fma_f64 v[28:29], v[99:100], v[38:39], -v[28:29]
	v_fma_f64 v[40:41], v[82:83], v[38:39], v[32:33]
	ds_read2_b64 v[36:39], v2 offset0:112 offset1:224
	v_fma_f64 v[82:83], v[12:13], v[42:43], -v[10:11]
	ds_read2_b64 v[10:13], v112 offset0:16 offset1:128
	v_mul_f64 v[30:31], v[14:15], v[50:51]
	v_fma_f64 v[92:93], v[78:79], v[42:43], v[5:6]
	s_waitcnt vmcnt(4) lgkmcnt(1)
	v_mul_f64 v[5:6], v[36:37], v[58:59]
	v_fma_f64 v[44:45], v[14:15], v[48:49], -v[26:27]
	v_mul_f64 v[26:27], v[20:21], v[54:55]
	v_mul_f64 v[34:35], v[16:17], v[58:59]
	s_waitcnt lgkmcnt(0)
	v_mul_f64 v[14:15], v[10:11], v[54:55]
	s_waitcnt vmcnt(3)
	v_mul_f64 v[50:51], v[38:39], v[70:71]
	v_fma_f64 v[78:79], v[80:81], v[48:49], v[30:31]
	v_fma_f64 v[32:33], v[16:17], v[56:57], -v[5:6]
	v_mul_f64 v[5:6], v[18:19], v[70:71]
	v_fma_f64 v[42:43], v[10:11], v[52:53], v[26:27]
	s_waitcnt vmcnt(2)
	v_mul_f64 v[10:11], v[12:13], v[86:87]
	v_fma_f64 v[34:35], v[36:37], v[56:57], v[34:35]
	v_fma_f64 v[36:37], v[20:21], v[52:53], -v[14:15]
	ds_read_b64 v[94:95], v108
	ds_read_b64 v[100:101], v109
	ds_read_b64 v[14:15], v107 offset:15232
	v_fma_f64 v[26:27], v[18:19], v[68:69], -v[50:51]
	s_waitcnt vmcnt(1)
	v_mul_f64 v[18:19], v[8:9], v[115:116]
	v_fma_f64 v[30:31], v[38:39], v[68:69], v[5:6]
	v_mul_f64 v[5:6], v[3:4], v[115:116]
	v_fma_f64 v[68:69], v[22:23], v[84:85], -v[10:11]
	s_waitcnt vmcnt(0) lgkmcnt(0)
	v_mul_f64 v[10:11], v[14:15], v[119:120]
	v_mul_f64 v[16:17], v[22:23], v[86:87]
	ds_read_b64 v[90:91], v0
	ds_read_b64 v[62:63], v1
	v_add_f64 v[0:1], v[64:65], v[88:89]
	v_fma_f64 v[70:71], v[3:4], v[113:114], v[18:19]
	v_add_f64 v[2:3], v[46:47], v[82:83]
	v_fma_f64 v[38:39], v[8:9], v[113:114], -v[5:6]
	v_mul_f64 v[5:6], v[133:134], v[119:120]
	v_add_f64 v[7:8], v[121:122], v[64:65]
	v_fma_f64 v[74:75], v[133:134], v[117:118], -v[10:11]
	v_add_f64 v[9:10], v[28:29], v[44:45]
	v_fma_f64 v[86:87], v[12:13], v[84:85], v[16:17]
	v_fma_f64 v[0:1], v[0:1], -0.5, v[121:122]
	v_add_f64 v[12:13], v[76:77], -v[96:97]
	v_fma_f64 v[2:3], v[2:3], -0.5, v[131:132]
	v_fma_f64 v[98:99], v[14:15], v[117:118], v[5:6]
	v_add_f64 v[14:15], v[66:67], -v[92:93]
	v_add_f64 v[6:7], v[7:8], v[88:89]
	v_add_f64 v[18:19], v[129:130], v[28:29]
	v_fma_f64 v[8:9], v[9:10], -0.5, v[129:130]
	v_add_f64 v[10:11], v[40:41], -v[78:79]
	v_fma_f64 v[16:17], v[12:13], s[4:5], v[0:1]
	v_fma_f64 v[0:1], v[12:13], s[6:7], v[0:1]
	v_add_f64 v[20:21], v[32:33], v[36:37]
	v_fma_f64 v[12:13], v[14:15], s[4:5], v[2:3]
	v_fma_f64 v[2:3], v[14:15], s[6:7], v[2:3]
	v_add_f64 v[14:15], v[18:19], v[44:45]
	v_add_f64 v[18:19], v[26:27], v[68:69]
	v_fma_f64 v[22:23], v[10:11], s[4:5], v[8:9]
	v_fma_f64 v[8:9], v[10:11], s[6:7], v[8:9]
	v_add_f64 v[10:11], v[38:39], v[74:75]
	v_add_f64 v[48:49], v[123:124], v[32:33]
	v_fma_f64 v[20:21], v[20:21], -0.5, v[123:124]
	v_add_f64 v[50:51], v[34:35], -v[42:43]
	v_add_f64 v[54:55], v[30:31], -v[86:87]
	v_fma_f64 v[18:19], v[18:19], -0.5, v[125:126]
	v_add_f64 v[58:59], v[70:71], -v[98:99]
	v_add_f64 v[4:5], v[131:132], v[46:47]
	v_fma_f64 v[10:11], v[10:11], -0.5, v[127:128]
	v_add_f64 v[52:53], v[125:126], v[26:27]
	v_add_f64 v[56:57], v[127:128], v[38:39]
	;; [unrolled: 1-line block ×3, first 2 shown]
	v_fma_f64 v[84:85], v[50:51], s[4:5], v[20:21]
	v_fma_f64 v[20:21], v[50:51], s[6:7], v[20:21]
	;; [unrolled: 1-line block ×6, first 2 shown]
	v_mov_b32_e32 v10, 0x900
	v_cndmask_b32_e64 v10, 0, v10, s[0:1]
	v_add_f64 v[4:5], v[4:5], v[82:83]
	v_add_f64 v[118:119], v[52:53], v[68:69]
	v_add_u32_e32 v10, 0, v10
	v_lshlrev_b32_e32 v11, 3, v135
	v_add_f64 v[52:53], v[56:57], v[74:75]
	v_add3_u32 v113, v10, v11, v60
	s_waitcnt lgkmcnt(0)
	s_barrier
	ds_write2_b64 v113, v[6:7], v[16:17] offset1:96
	ds_write_b64 v113, v[0:1] offset:1536
	v_mov_b32_e32 v1, 3
	v_mad_u32_u24 v0, v136, s10, 0
	v_lshlrev_b32_sdwa v1, v1, v137 dst_sel:DWORD dst_unused:UNUSED_PAD src0_sel:DWORD src1_sel:BYTE_0
	v_add3_u32 v114, v0, v1, v60
	v_mad_u32_u24 v0, v138, s10, 0
	v_lshlrev_b32_e32 v1, 3, v139
	v_add3_u32 v115, v0, v1, v60
	v_mad_u32_u24 v0, v140, s10, 0
	v_lshlrev_b32_e32 v1, 3, v141
	;; [unrolled: 3-line block ×4, first 2 shown]
	ds_write2_b64 v114, v[4:5], v[12:13] offset1:96
	ds_write_b64 v114, v[2:3] offset:1536
	ds_write2_b64 v115, v[14:15], v[22:23] offset1:96
	ds_write_b64 v115, v[8:9] offset:1536
	;; [unrolled: 2-line block ×4, first 2 shown]
	v_add3_u32 v118, v0, v1, v60
	v_add_u32_e32 v119, 0x800, v107
	v_add_u32_e32 v120, 0x1000, v107
	;; [unrolled: 1-line block ×4, first 2 shown]
	ds_write2_b64 v118, v[52:53], v[54:55] offset1:96
	ds_write_b64 v118, v[50:51] offset:1536
	s_waitcnt lgkmcnt(0)
	s_barrier
	ds_read2_b64 v[0:3], v119 offset0:32 offset1:144
	ds_read2_b64 v[16:19], v120 offset0:64 offset1:176
	;; [unrolled: 1-line block ×6, first 2 shown]
	ds_read_b64 v[80:81], v110
	ds_read_b64 v[84:85], v109
	v_cmp_gt_u32_e64 s[0:1], 64, v104
                                        ; implicit-def: $vgpr60_vgpr61
                                        ; implicit-def: $vgpr58_vgpr59
                                        ; implicit-def: $vgpr56_vgpr57
	s_and_saveexec_b64 s[10:11], s[0:1]
	s_cbranch_execz .LBB0_15
; %bb.14:
	ds_read_b64 v[52:53], v107 offset:4096
	ds_read_b64 v[54:55], v107 offset:6400
	;; [unrolled: 1-line block ×5, first 2 shown]
	ds_read_b64 v[48:49], v108
	ds_read_b64 v[60:61], v107 offset:15616
.LBB0_15:
	s_or_b64 exec, exec, s[10:11]
	v_add_f64 v[123:124], v[102:103], v[76:77]
	v_add_f64 v[76:77], v[76:77], v[96:97]
	v_add_f64 v[64:65], v[64:65], -v[88:89]
	v_add_f64 v[46:47], v[46:47], -v[82:83]
	;; [unrolled: 1-line block ×5, first 2 shown]
	s_waitcnt lgkmcnt(0)
	v_add_f64 v[123:124], v[123:124], v[96:97]
	v_fma_f64 v[76:77], v[76:77], -0.5, v[102:103]
	s_barrier
	v_fma_f64 v[88:89], v[64:65], s[6:7], v[76:77]
	v_fma_f64 v[76:77], v[64:65], s[4:5], v[76:77]
	v_add_f64 v[64:65], v[100:101], v[66:67]
	v_add_f64 v[96:97], v[64:65], v[92:93]
	v_add_f64 v[64:65], v[66:67], v[92:93]
	v_fma_f64 v[64:65], v[64:65], -0.5, v[100:101]
	v_fma_f64 v[82:83], v[46:47], s[6:7], v[64:65]
	v_fma_f64 v[46:47], v[46:47], s[4:5], v[64:65]
	v_add_f64 v[64:65], v[94:95], v[40:41]
	v_add_f64 v[40:41], v[40:41], v[78:79]
	v_add_f64 v[92:93], v[64:65], v[78:79]
	v_fma_f64 v[40:41], v[40:41], -0.5, v[94:95]
	;; [unrolled: 6-line block ×4, first 2 shown]
	v_fma_f64 v[42:43], v[26:27], s[6:7], v[30:31]
	v_fma_f64 v[62:63], v[26:27], s[4:5], v[30:31]
	v_add_f64 v[26:27], v[24:25], v[70:71]
	v_add_f64 v[64:65], v[26:27], v[98:99]
	;; [unrolled: 1-line block ×3, first 2 shown]
                                        ; implicit-def: $vgpr70_vgpr71
	v_fma_f64 v[24:25], v[26:27], -0.5, v[24:25]
	v_add_f64 v[26:27], v[38:39], -v[74:75]
                                        ; implicit-def: $vgpr74_vgpr75
	v_fma_f64 v[68:69], v[26:27], s[6:7], v[24:25]
	v_fma_f64 v[66:67], v[26:27], s[4:5], v[24:25]
	ds_write2_b64 v113, v[123:124], v[88:89] offset1:96
	ds_write_b64 v113, v[76:77] offset:1536
	ds_write2_b64 v114, v[96:97], v[82:83] offset1:96
	ds_write_b64 v114, v[46:47] offset:1536
	ds_write2_b64 v115, v[92:93], v[44:45] offset1:96
	ds_write_b64 v115, v[28:29] offset:1536
	ds_write2_b64 v116, v[40:41], v[36:37] offset1:96
	ds_write_b64 v116, v[32:33] offset:1536
	ds_write2_b64 v117, v[34:35], v[42:43] offset1:96
	ds_write_b64 v117, v[62:63] offset:1536
	ds_write2_b64 v118, v[64:65], v[68:69] offset1:96
	ds_write_b64 v118, v[66:67] offset:1536
	s_waitcnt lgkmcnt(0)
	s_barrier
	ds_read_b64 v[82:83], v110
	ds_read2_b64 v[40:43], v119 offset0:32 offset1:144
	ds_read2_b64 v[32:35], v120 offset0:64 offset1:176
	;; [unrolled: 1-line block ×6, first 2 shown]
	ds_read_b64 v[86:87], v109
                                        ; implicit-def: $vgpr76_vgpr77
	s_and_saveexec_b64 s[4:5], s[0:1]
	s_cbranch_execz .LBB0_17
; %bb.16:
	ds_read_b64 v[64:65], v107 offset:4096
	ds_read_b64 v[68:69], v107 offset:6400
	;; [unrolled: 1-line block ×5, first 2 shown]
	ds_read_b64 v[62:63], v108
	ds_read_b64 v[76:77], v107 offset:15616
.LBB0_17:
	s_or_b64 exec, exec, s[4:5]
	s_and_saveexec_b64 s[4:5], vcc
	s_cbranch_execz .LBB0_20
; %bb.18:
	v_mul_i32_i24_e32 v78, 6, v106
	v_mov_b32_e32 v79, 0
	v_lshlrev_b64 v[88:89], 4, v[78:79]
	v_mov_b32_e32 v78, s9
	v_add_co_u32_e32 v92, vcc, s8, v88
	v_addc_co_u32_e32 v108, vcc, v78, v89, vcc
	v_add_co_u32_e32 v106, vcc, 0x11e0, v92
	v_addc_co_u32_e32 v107, vcc, 0, v108, vcc
	s_movk_i32 s28, 0x1220
	v_add_co_u32_e32 v88, vcc, s28, v92
	v_addc_co_u32_e32 v89, vcc, 0, v108, vcc
	global_load_dwordx4 v[88:91], v[88:89], off offset:16
	v_add_co_u32_e32 v114, vcc, 0x1000, v92
	global_load_dwordx4 v[92:95], v[106:107], off offset:32
	global_load_dwordx4 v[96:99], v[106:107], off offset:16
	;; [unrolled: 1-line block ×3, first 2 shown]
	v_addc_co_u32_e32 v115, vcc, 0, v108, vcc
	global_load_dwordx4 v[106:109], v[114:115], off offset:480
	global_load_dwordx4 v[110:113], v[114:115], off offset:544
	v_mul_u32_u24_e32 v114, 6, v104
	v_lshlrev_b32_e32 v114, 4, v114
	v_add_co_u32_e32 v114, vcc, s8, v114
	s_movk_i32 s20, 0x11e0
	v_addc_co_u32_e32 v78, vcc, 0, v78, vcc
	v_add_co_u32_e32 v126, vcc, s20, v114
	s_movk_i32 s29, 0x1000
	v_addc_co_u32_e32 v127, vcc, 0, v78, vcc
	v_add_co_u32_e32 v128, vcc, s29, v114
	v_addc_co_u32_e32 v129, vcc, 0, v78, vcc
	v_add_co_u32_e32 v122, vcc, s28, v114
	v_addc_co_u32_e32 v123, vcc, 0, v78, vcc
	global_load_dwordx4 v[114:117], v[126:127], off offset:16
	global_load_dwordx4 v[118:121], v[128:129], off offset:544
	s_nop 0
	global_load_dwordx4 v[122:125], v[122:123], off offset:16
	s_mov_b32 s6, 0xe976ee23
	s_mov_b32 s14, 0x37e14327
	;; [unrolled: 1-line block ×20, first 2 shown]
	v_add_u32_e32 v78, 0x120, v104
	s_waitcnt vmcnt(8) lgkmcnt(1)
	v_mul_f64 v[130:131], v[46:47], v[90:91]
	v_mul_f64 v[90:91], v[14:15], v[90:91]
	s_waitcnt vmcnt(7)
	v_mul_f64 v[132:133], v[26:27], v[94:95]
	s_waitcnt vmcnt(6)
	v_mul_f64 v[134:135], v[34:35], v[98:99]
	v_mul_f64 v[98:99], v[18:19], v[98:99]
	;; [unrolled: 1-line block ×3, first 2 shown]
	s_waitcnt vmcnt(4)
	v_mul_f64 v[138:139], v[42:43], v[108:109]
	s_waitcnt vmcnt(3)
	v_mul_f64 v[140:141], v[38:39], v[112:113]
	v_fma_f64 v[14:15], v[14:15], v[88:89], -v[130:131]
	v_fma_f64 v[46:47], v[46:47], v[88:89], v[90:91]
	v_fma_f64 v[6:7], v[6:7], v[92:93], -v[132:133]
	v_fma_f64 v[18:19], v[18:19], v[96:97], -v[134:135]
	v_fma_f64 v[34:35], v[34:35], v[96:97], v[98:99]
	v_fma_f64 v[26:27], v[26:27], v[92:93], v[94:95]
	global_load_dwordx4 v[88:91], v[126:127], off offset:48
	global_load_dwordx4 v[92:95], v[128:129], off offset:480
	;; [unrolled: 1-line block ×3, first 2 shown]
	v_mul_f64 v[108:109], v[2:3], v[108:109]
	v_mul_f64 v[112:113], v[22:23], v[112:113]
	;; [unrolled: 1-line block ×4, first 2 shown]
	v_fma_f64 v[2:3], v[2:3], v[106:107], -v[138:139]
	v_fma_f64 v[22:23], v[22:23], v[110:111], -v[140:141]
	v_fma_f64 v[42:43], v[42:43], v[106:107], v[108:109]
	v_fma_f64 v[38:39], v[38:39], v[110:111], v[112:113]
	v_fma_f64 v[10:11], v[10:11], v[100:101], -v[136:137]
	v_fma_f64 v[30:31], v[30:31], v[100:101], v[102:103]
	v_add_f64 v[110:111], v[2:3], v[14:15]
	v_add_f64 v[112:113], v[18:19], v[22:23]
	v_add_f64 v[2:3], v[2:3], -v[14:15]
	v_add_f64 v[14:15], v[18:19], -v[22:23]
	v_add_f64 v[106:107], v[42:43], v[46:47]
	v_add_f64 v[108:109], v[34:35], v[38:39]
	v_add_f64 v[100:101], v[10:11], -v[6:7]
	v_add_f64 v[102:103], v[30:31], v[26:27]
	v_add_f64 v[6:7], v[10:11], v[6:7]
	v_add_f64 v[10:11], v[30:31], -v[26:27]
	v_add_f64 v[30:31], v[110:111], v[112:113]
	v_add_f64 v[18:19], v[42:43], -v[46:47]
	v_add_f64 v[22:23], v[34:35], -v[38:39]
	v_add_f64 v[26:27], v[106:107], v[108:109]
	v_add_f64 v[34:35], v[2:3], -v[100:101]
	;; [unrolled: 3-line block ×3, first 2 shown]
	v_add_f64 v[100:101], v[102:103], -v[108:109]
	v_add_f64 v[126:127], v[110:111], -v[6:7]
	;; [unrolled: 1-line block ×5, first 2 shown]
	v_add_f64 v[26:27], v[102:103], v[26:27]
	v_add_f64 v[6:7], v[6:7], v[30:31]
	;; [unrolled: 1-line block ×3, first 2 shown]
	v_add_f64 v[130:131], v[18:19], -v[10:11]
	v_add_f64 v[10:11], v[10:11], -v[22:23]
	;; [unrolled: 1-line block ×3, first 2 shown]
	v_add_f64 v[2:3], v[2:3], v[42:43]
	v_mul_f64 v[30:31], v[14:15], s[16:17]
	v_mul_f64 v[38:39], v[38:39], s[6:7]
	;; [unrolled: 1-line block ×4, first 2 shown]
	s_waitcnt lgkmcnt(0)
	v_add_f64 v[86:87], v[86:87], v[26:27]
	v_add_f64 v[84:85], v[84:85], v[6:7]
	v_mul_f64 v[102:103], v[108:109], s[10:11]
	v_add_f64 v[108:109], v[112:113], -v[110:111]
	v_mul_f64 v[110:111], v[126:127], s[14:15]
	v_fma_f64 v[30:31], v[34:35], s[18:19], -v[30:31]
	v_fma_f64 v[34:35], v[34:35], s[4:5], v[38:39]
	v_fma_f64 v[46:47], v[46:47], s[14:15], v[42:43]
	v_fma_f64 v[100:101], v[106:107], s[20:21], -v[100:101]
	v_fma_f64 v[42:43], v[106:107], s[26:27], -v[42:43]
	v_mul_f64 v[106:107], v[22:23], s[16:17]
	v_mul_f64 v[10:11], v[10:11], s[6:7]
	v_fma_f64 v[14:15], v[14:15], s[16:17], -v[38:39]
	v_fma_f64 v[110:111], v[108:109], s[20:21], -v[110:111]
	v_fma_f64 v[26:27], v[26:27], s[24:25], v[86:87]
	v_fma_f64 v[6:7], v[6:7], s[24:25], v[84:85]
	v_add_f64 v[18:19], v[18:19], v[128:129]
	v_fma_f64 v[38:39], v[126:127], s[14:15], v[102:103]
	v_fma_f64 v[102:103], v[108:109], s[26:27], -v[102:103]
	v_fma_f64 v[108:109], v[130:131], s[4:5], v[10:11]
	v_fma_f64 v[106:107], v[130:131], s[18:19], -v[106:107]
	v_fma_f64 v[10:11], v[22:23], s[16:17], -v[10:11]
	v_fma_f64 v[34:35], v[2:3], s[22:23], v[34:35]
	v_add_f64 v[46:47], v[46:47], v[26:27]
	v_fma_f64 v[22:23], v[2:3], s[22:23], v[30:31]
	v_add_f64 v[30:31], v[100:101], v[26:27]
	v_add_f64 v[100:101], v[110:111], v[6:7]
	;; [unrolled: 1-line block ×3, first 2 shown]
	s_waitcnt vmcnt(4)
	v_mul_f64 v[42:43], v[36:37], v[120:121]
	v_fma_f64 v[110:111], v[2:3], s[22:23], v[14:15]
	v_mul_f64 v[2:3], v[32:33], v[116:117]
	v_add_f64 v[38:39], v[38:39], v[6:7]
	v_fma_f64 v[108:109], v[18:19], s[22:23], v[108:109]
	v_fma_f64 v[106:107], v[18:19], s[22:23], v[106:107]
	v_add_f64 v[102:103], v[102:103], v[6:7]
	v_fma_f64 v[10:11], v[18:19], s[22:23], v[10:11]
	s_waitcnt vmcnt(3)
	v_mul_f64 v[6:7], v[12:13], v[124:125]
	s_waitcnt vmcnt(2)
	v_mul_f64 v[14:15], v[28:29], v[90:91]
	v_fma_f64 v[18:19], v[20:21], v[118:119], -v[42:43]
	s_waitcnt vmcnt(1)
	v_mul_f64 v[42:43], v[0:1], v[94:95]
	v_mul_f64 v[20:21], v[20:21], v[120:121]
	v_fma_f64 v[112:113], v[16:17], v[114:115], -v[2:3]
	s_waitcnt vmcnt(0)
	v_mul_f64 v[2:3], v[24:25], v[98:99]
	v_mul_f64 v[116:117], v[16:17], v[116:117]
	v_fma_f64 v[120:121], v[44:45], v[122:123], v[6:7]
	v_mul_f64 v[6:7], v[44:45], v[124:125]
	v_mul_f64 v[44:45], v[40:41], v[94:95]
	v_fma_f64 v[40:41], v[40:41], v[92:93], v[42:43]
	v_fma_f64 v[42:43], v[8:9], v[88:89], -v[14:15]
	v_fma_f64 v[36:37], v[36:37], v[118:119], v[20:21]
	v_fma_f64 v[94:95], v[4:5], v[96:97], -v[2:3]
	v_fma_f64 v[32:33], v[32:33], v[114:115], v[116:117]
	v_mul_f64 v[2:3], v[4:5], v[98:99]
	v_mul_f64 v[4:5], v[8:9], v[90:91]
	v_fma_f64 v[0:1], v[0:1], v[92:93], -v[44:45]
	v_fma_f64 v[12:13], v[12:13], v[122:123], -v[6:7]
	v_add_f64 v[90:91], v[112:113], -v[18:19]
	v_add_f64 v[92:93], v[40:41], v[120:121]
	v_add_f64 v[44:45], v[42:43], -v[94:95]
	v_add_f64 v[98:99], v[32:33], v[36:37]
	v_fma_f64 v[24:25], v[24:25], v[96:97], v[2:3]
	v_fma_f64 v[28:29], v[28:29], v[88:89], v[4:5]
	v_add_f64 v[112:113], v[112:113], v[18:19]
	v_add_f64 v[88:89], v[0:1], -v[12:13]
	v_add_f64 v[0:1], v[0:1], v[12:13]
	v_add_f64 v[4:5], v[22:23], v[30:31]
	v_add_f64 v[20:21], v[44:45], -v[90:91]
	v_add_f64 v[96:97], v[92:93], v[98:99]
	v_add_f64 v[8:9], v[26:27], -v[110:111]
	v_add_f64 v[114:115], v[28:29], v[24:25]
	v_add_f64 v[12:13], v[110:111], v[26:27]
	;; [unrolled: 1-line block ×3, first 2 shown]
	v_add_f64 v[26:27], v[88:89], -v[44:45]
	v_add_f64 v[44:45], v[44:45], v[90:91]
	v_mul_f64 v[110:111], v[20:21], s[6:7]
	v_add_f64 v[20:21], v[30:31], -v[22:23]
	v_add_f64 v[30:31], v[0:1], v[112:113]
	v_add_f64 v[22:23], v[114:115], v[96:97]
	v_add_f64 v[28:29], v[28:29], -v[24:25]
	v_add_f64 v[32:33], v[32:33], -v[36:37]
	v_add_f64 v[96:97], v[42:43], -v[112:113]
	v_add_f64 v[40:41], v[40:41], -v[120:121]
	v_add_f64 v[2:3], v[100:101], -v[106:107]
	v_add_f64 v[6:7], v[10:11], v[102:103]
	v_add_f64 v[30:31], v[42:43], v[30:31]
	;; [unrolled: 1-line block ×3, first 2 shown]
	v_add_f64 v[82:83], v[114:115], -v[98:99]
	v_add_f64 v[10:11], v[102:103], -v[10:11]
	v_add_f64 v[18:19], v[106:107], v[100:101]
	v_add_f64 v[44:45], v[88:89], v[44:45]
	v_add_f64 v[100:101], v[28:29], -v[32:33]
	v_add_f64 v[42:43], v[0:1], -v[42:43]
	;; [unrolled: 1-line block ×3, first 2 shown]
	v_fma_f64 v[102:103], v[22:23], s[24:25], v[24:25]
	v_add_f64 v[22:23], v[80:81], v[30:31]
	v_mul_f64 v[80:81], v[96:97], s[10:11]
	v_add_f64 v[96:97], v[40:41], -v[28:29]
	v_add_f64 v[28:29], v[28:29], v[32:33]
	v_add_f64 v[32:33], v[32:33], -v[40:41]
	v_add_f64 v[36:37], v[92:93], -v[114:115]
	v_mul_f64 v[82:83], v[82:83], s[10:11]
	v_mul_f64 v[100:101], v[100:101], s[6:7]
	v_fma_f64 v[30:31], v[30:31], s[24:25], v[22:23]
	v_mul_f64 v[90:91], v[42:43], s[14:15]
	v_fma_f64 v[42:43], v[42:43], s[14:15], v[80:81]
	v_add_f64 v[28:29], v[40:41], v[28:29]
	v_mul_f64 v[40:41], v[88:89], s[16:17]
	v_add_f64 v[92:93], v[98:99], -v[92:93]
	v_add_f64 v[0:1], v[112:113], -v[0:1]
	v_mul_f64 v[98:99], v[32:33], s[16:17]
	v_mul_f64 v[106:107], v[36:37], s[14:15]
	v_fma_f64 v[36:37], v[36:37], s[14:15], v[82:83]
	v_fma_f64 v[94:95], v[26:27], s[4:5], v[110:111]
	v_add_f64 v[116:117], v[42:43], v[30:31]
	v_fma_f64 v[26:27], v[26:27], s[18:19], -v[40:41]
	v_fma_f64 v[82:83], v[92:93], s[26:27], -v[82:83]
	;; [unrolled: 1-line block ×7, first 2 shown]
	v_fma_f64 v[114:115], v[96:97], s[4:5], v[100:101]
	v_add_f64 v[112:113], v[36:37], v[102:103]
	v_fma_f64 v[36:37], v[92:93], s[20:21], -v[106:107]
	v_fma_f64 v[94:95], v[44:45], s[22:23], v[94:95]
	v_fma_f64 v[80:81], v[44:45], s[22:23], v[26:27]
	;; [unrolled: 1-line block ×3, first 2 shown]
	v_add_f64 v[42:43], v[82:83], v[102:103]
	v_fma_f64 v[44:45], v[44:45], s[22:23], v[88:89]
	v_add_f64 v[0:1], v[0:1], v[30:31]
	v_fma_f64 v[82:83], v[28:29], s[22:23], v[32:33]
	;; [unrolled: 2-line block ×3, first 2 shown]
	v_add_f64 v[28:29], v[46:47], -v[34:35]
	v_mad_u64_u32 v[46:47], s[30:31], s2, v104, 0
	v_add_f64 v[90:91], v[36:37], v[102:103]
	v_add_f64 v[92:93], v[40:41], v[30:31]
	v_add_f64 v[14:15], v[38:39], -v[108:109]
	v_add_f64 v[26:27], v[108:109], v[38:39]
	v_add_f64 v[40:41], v[42:43], -v[44:45]
	v_add_f64 v[38:39], v[82:83], v[0:1]
	v_add_f64 v[44:45], v[44:45], v[42:43]
	v_add_f64 v[42:43], v[0:1], -v[82:83]
	v_mov_b32_e32 v0, v47
	v_mad_u64_u32 v[0:1], s[30:31], s3, v104, v[0:1]
	v_mov_b32_e32 v1, s13
	v_add_f64 v[36:37], v[80:81], v[90:91]
	v_mov_b32_e32 v47, v0
	v_add_co_u32_e32 v0, vcc, s12, v72
	v_lshlrev_b64 v[46:47], 4, v[46:47]
	v_add_f64 v[34:35], v[92:93], -v[96:97]
	v_add_f64 v[82:83], v[90:91], -v[80:81]
	v_add_f64 v[80:81], v[96:97], v[92:93]
	v_mad_u64_u32 v[92:93], s[30:31], s2, v78, 0
	v_addc_co_u32_e32 v1, vcc, v1, v73, vcc
	v_add_co_u32_e32 v46, vcc, v0, v46
	v_addc_co_u32_e32 v47, vcc, v1, v47, vcc
	global_store_dwordx4 v[46:47], v[22:25], off
	v_add_u32_e32 v46, 0x240, v104
	v_mov_b32_e32 v72, v93
	v_mad_u64_u32 v[24:25], s[12:13], s2, v46, 0
	v_mad_u64_u32 v[72:73], s[12:13], s3, v78, v[72:73]
	v_add_f64 v[90:91], v[112:113], -v[94:95]
	v_add_f64 v[88:89], v[114:115], v[116:117]
	v_mad_u64_u32 v[46:47], s[12:13], s3, v46, v[25:26]
	v_mov_b32_e32 v93, v72
	v_add_u32_e32 v47, 0x360, v104
	v_lshlrev_b64 v[22:23], 4, v[92:93]
	v_mad_u64_u32 v[72:73], s[12:13], s2, v47, 0
	v_add_co_u32_e32 v22, vcc, v0, v22
	v_addc_co_u32_e32 v23, vcc, v1, v23, vcc
	v_mov_b32_e32 v25, v46
	global_store_dwordx4 v[22:23], v[88:91], off
	v_lshlrev_b64 v[22:23], 4, v[24:25]
	v_mov_b32_e32 v24, v73
	v_mad_u64_u32 v[24:25], s[12:13], s3, v47, v[24:25]
	v_or_b32_e32 v46, 0x480, v104
	v_add_co_u32_e32 v22, vcc, v0, v22
	v_mov_b32_e32 v73, v24
	v_mad_u64_u32 v[24:25], s[12:13], s2, v46, 0
	v_addc_co_u32_e32 v23, vcc, v1, v23, vcc
	v_mad_u64_u32 v[46:47], s[12:13], s3, v46, v[25:26]
	v_add_u32_e32 v47, 0x5a0, v104
	global_store_dwordx4 v[22:23], v[80:83], off
	v_lshlrev_b64 v[22:23], 4, v[72:73]
	v_mad_u64_u32 v[72:73], s[12:13], s2, v47, 0
	v_add_co_u32_e32 v22, vcc, v0, v22
	v_addc_co_u32_e32 v23, vcc, v1, v23, vcc
	v_mov_b32_e32 v25, v46
	global_store_dwordx4 v[22:23], v[42:45], off
	v_lshlrev_b64 v[22:23], 4, v[24:25]
	v_mov_b32_e32 v24, v73
	v_mad_u64_u32 v[24:25], s[12:13], s3, v47, v[24:25]
	v_add_co_u32_e32 v22, vcc, v0, v22
	v_addc_co_u32_e32 v23, vcc, v1, v23, vcc
	global_store_dwordx4 v[22:23], v[38:41], off
	v_mov_b32_e32 v73, v24
	v_add_u32_e32 v38, 0x6c0, v104
	v_mad_u64_u32 v[24:25], s[12:13], s2, v38, 0
	v_add_u32_e32 v41, 0x70, v104
	v_add_f64 v[32:33], v[94:95], v[112:113]
	v_mad_u64_u32 v[38:39], s[12:13], s3, v38, v[25:26]
	v_add_f64 v[30:31], v[116:117], -v[114:115]
	v_lshlrev_b64 v[22:23], 4, v[72:73]
	v_mad_u64_u32 v[39:40], s[12:13], s2, v41, 0
	v_add_co_u32_e32 v22, vcc, v0, v22
	v_addc_co_u32_e32 v23, vcc, v1, v23, vcc
	v_mov_b32_e32 v25, v38
	global_store_dwordx4 v[22:23], v[34:37], off
	v_lshlrev_b64 v[22:23], 4, v[24:25]
	v_mov_b32_e32 v24, v40
	v_mad_u64_u32 v[24:25], s[12:13], s3, v41, v[24:25]
	v_add_co_u32_e32 v22, vcc, v0, v22
	v_addc_co_u32_e32 v23, vcc, v1, v23, vcc
	global_store_dwordx4 v[22:23], v[30:33], off
	v_mov_b32_e32 v40, v24
	v_add_u32_e32 v30, 0x190, v104
	v_mad_u64_u32 v[24:25], s[12:13], s2, v30, 0
	v_add_u32_e32 v33, 0x2b0, v104
	v_lshlrev_b64 v[22:23], 4, v[39:40]
	v_mad_u64_u32 v[30:31], s[12:13], s3, v30, v[25:26]
	v_mad_u64_u32 v[31:32], s[12:13], s2, v33, 0
	v_add_co_u32_e32 v22, vcc, v0, v22
	v_addc_co_u32_e32 v23, vcc, v1, v23, vcc
	v_mov_b32_e32 v25, v30
	global_store_dwordx4 v[22:23], v[84:87], off
	v_lshlrev_b64 v[22:23], 4, v[24:25]
	v_mov_b32_e32 v24, v32
	v_mad_u64_u32 v[24:25], s[12:13], s3, v33, v[24:25]
	v_add_co_u32_e32 v22, vcc, v0, v22
	v_addc_co_u32_e32 v23, vcc, v1, v23, vcc
	global_store_dwordx4 v[22:23], v[26:29], off
	v_mov_b32_e32 v32, v24
	v_add_u32_e32 v26, 0x3d0, v104
	v_mad_u64_u32 v[24:25], s[12:13], s2, v26, 0
	v_lshlrev_b64 v[22:23], 4, v[31:32]
	v_add_u32_e32 v28, 0x4f0, v104
	v_mad_u64_u32 v[25:26], s[12:13], s3, v26, v[25:26]
	v_add_co_u32_e32 v22, vcc, v0, v22
	v_addc_co_u32_e32 v23, vcc, v1, v23, vcc
	v_mad_u64_u32 v[26:27], s[12:13], s2, v28, 0
	global_store_dwordx4 v[22:23], v[18:21], off
	s_nop 0
	v_lshlrev_b64 v[18:19], 4, v[24:25]
	v_mov_b32_e32 v20, v27
	v_add_co_u32_e32 v18, vcc, v0, v18
	v_addc_co_u32_e32 v19, vcc, v1, v19, vcc
	global_store_dwordx4 v[18:19], v[10:13], off
	v_add_u32_e32 v18, 0x610, v104
	v_mad_u64_u32 v[20:21], s[12:13], s3, v28, v[20:21]
	v_mad_u64_u32 v[12:13], s[12:13], s2, v18, 0
	v_mov_b32_e32 v27, v20
	v_add_u32_e32 v21, 0x730, v104
	v_mad_u64_u32 v[18:19], s[12:13], s3, v18, v[13:14]
	v_lshlrev_b64 v[10:11], 4, v[26:27]
	v_mad_u64_u32 v[19:20], s[12:13], s2, v21, 0
	v_add_co_u32_e32 v10, vcc, v0, v10
	v_addc_co_u32_e32 v11, vcc, v1, v11, vcc
	global_store_dwordx4 v[10:11], v[6:9], off
	v_mov_b32_e32 v13, v18
	v_mov_b32_e32 v8, v20
	v_mad_u64_u32 v[8:9], s[12:13], s3, v21, v[8:9]
	v_lshlrev_b64 v[6:7], 4, v[12:13]
	v_add_co_u32_e32 v6, vcc, v0, v6
	v_addc_co_u32_e32 v7, vcc, v1, v7, vcc
	v_mov_b32_e32 v20, v8
	global_store_dwordx4 v[6:7], v[2:5], off
	s_nop 0
	v_lshlrev_b64 v[2:3], 4, v[19:20]
	v_add_co_u32_e32 v2, vcc, v0, v2
	v_addc_co_u32_e32 v3, vcc, v1, v3, vcc
	global_store_dwordx4 v[2:3], v[14:17], off
	s_and_b64 exec, exec, s[0:1]
	s_cbranch_execz .LBB0_20
; %bb.19:
	v_subrev_u32_e32 v2, 64, v104
	v_cndmask_b32_e64 v2, v2, v105, s[0:1]
	v_mul_i32_i24_e32 v78, 6, v2
	v_lshlrev_b64 v[2:3], 4, v[78:79]
	v_mov_b32_e32 v4, s9
	v_add_co_u32_e32 v20, vcc, s8, v2
	v_addc_co_u32_e32 v21, vcc, v4, v3, vcc
	v_add_co_u32_e32 v18, vcc, 0x11e0, v20
	v_addc_co_u32_e32 v19, vcc, 0, v21, vcc
	;; [unrolled: 2-line block ×4, first 2 shown]
	global_load_dwordx4 v[2:5], v[18:19], off offset:32
	global_load_dwordx4 v[6:9], v[18:19], off offset:16
	global_load_dwordx4 v[10:13], v[26:27], off offset:480
	global_load_dwordx4 v[14:17], v[18:19], off offset:48
	s_nop 0
	global_load_dwordx4 v[18:21], v[28:29], off offset:16
	global_load_dwordx4 v[22:25], v[26:27], off offset:544
	v_add_u32_e32 v28, 0xe0, v104
	v_or_b32_e32 v29, 0x200, v104
	v_mad_u64_u32 v[26:27], s[0:1], s2, v28, 0
	v_mad_u64_u32 v[30:31], s[0:1], s2, v29, 0
	;; [unrolled: 1-line block ×3, first 2 shown]
	v_mov_b32_e32 v28, v31
	v_mad_u64_u32 v[34:35], s[0:1], s3, v29, v[28:29]
	v_add_u32_e32 v72, 0x320, v104
	v_mad_u64_u32 v[32:33], s[0:1], s2, v72, 0
	v_lshlrev_b64 v[26:27], 4, v[26:27]
	v_mov_b32_e32 v31, v34
	s_waitcnt vmcnt(5)
	v_mul_f64 v[35:36], v[66:67], v[4:5]
	s_waitcnt vmcnt(4)
	v_mul_f64 v[28:29], v[68:69], v[8:9]
	v_mul_f64 v[8:9], v[54:55], v[8:9]
	v_mul_f64 v[4:5], v[50:51], v[4:5]
	s_waitcnt vmcnt(3)
	v_mul_f64 v[37:38], v[64:65], v[12:13]
	v_mul_f64 v[12:13], v[52:53], v[12:13]
	s_waitcnt vmcnt(1)
	v_mul_f64 v[41:42], v[76:77], v[20:21]
	v_mul_f64 v[20:21], v[60:61], v[20:21]
	;; [unrolled: 3-line block ×3, first 2 shown]
	v_mul_f64 v[39:40], v[70:71], v[16:17]
	v_mul_f64 v[16:17], v[56:57], v[16:17]
	v_fma_f64 v[28:29], v[54:55], v[6:7], -v[28:29]
	v_fma_f64 v[6:7], v[68:69], v[6:7], v[8:9]
	v_fma_f64 v[8:9], v[52:53], v[10:11], -v[37:38]
	v_fma_f64 v[10:11], v[64:65], v[10:11], v[12:13]
	;; [unrolled: 2-line block ×6, first 2 shown]
	v_add_f64 v[16:17], v[8:9], v[12:13]
	v_add_f64 v[35:36], v[10:11], v[18:19]
	v_add_f64 v[8:9], v[8:9], -v[12:13]
	v_add_f64 v[10:11], v[10:11], -v[18:19]
	v_add_f64 v[12:13], v[28:29], v[4:5]
	v_add_f64 v[18:19], v[6:7], v[22:23]
	v_add_f64 v[4:5], v[28:29], -v[4:5]
	v_add_f64 v[6:7], v[6:7], -v[22:23]
	;; [unrolled: 4-line block ×4, first 2 shown]
	v_add_f64 v[16:17], v[16:17], -v[22:23]
	v_add_f64 v[35:36], v[35:36], -v[28:29]
	;; [unrolled: 1-line block ×4, first 2 shown]
	v_add_f64 v[41:42], v[20:21], v[4:5]
	v_add_f64 v[43:44], v[2:3], v[6:7]
	v_add_f64 v[45:46], v[20:21], -v[4:5]
	v_add_f64 v[50:51], v[2:3], -v[6:7]
	v_add_f64 v[14:15], v[22:23], v[14:15]
	v_add_f64 v[22:23], v[28:29], v[24:25]
	v_add_f64 v[20:21], v[8:9], -v[20:21]
	v_add_f64 v[52:53], v[10:11], -v[2:3]
	;; [unrolled: 1-line block ×4, first 2 shown]
	v_add_f64 v[8:9], v[41:42], v[8:9]
	v_add_f64 v[10:11], v[43:44], v[10:11]
	v_mul_f64 v[16:17], v[16:17], s[14:15]
	v_mul_f64 v[24:25], v[35:36], s[14:15]
	;; [unrolled: 1-line block ×6, first 2 shown]
	v_add_f64 v[2:3], v[48:49], v[14:15]
	v_add_f64 v[4:5], v[62:63], v[22:23]
	v_mul_f64 v[45:46], v[54:55], s[16:17]
	v_mul_f64 v[50:51], v[6:7], s[16:17]
	v_fma_f64 v[12:13], v[12:13], s[10:11], v[16:17]
	v_fma_f64 v[18:19], v[18:19], s[10:11], v[24:25]
	v_fma_f64 v[28:29], v[37:38], s[26:27], -v[28:29]
	v_fma_f64 v[35:36], v[39:40], s[26:27], -v[35:36]
	;; [unrolled: 1-line block ×4, first 2 shown]
	v_fma_f64 v[37:38], v[20:21], s[4:5], v[41:42]
	v_fma_f64 v[39:40], v[52:53], s[4:5], v[43:44]
	;; [unrolled: 1-line block ×4, first 2 shown]
	v_fma_f64 v[41:42], v[54:55], s[16:17], -v[41:42]
	v_fma_f64 v[6:7], v[6:7], s[16:17], -v[43:44]
	;; [unrolled: 1-line block ×4, first 2 shown]
	v_fma_f64 v[37:38], v[8:9], s[22:23], v[37:38]
	v_fma_f64 v[39:40], v[10:11], s[22:23], v[39:40]
	v_add_f64 v[49:50], v[12:13], v[14:15]
	v_add_f64 v[51:52], v[18:19], v[22:23]
	v_fma_f64 v[41:42], v[8:9], s[22:23], v[41:42]
	v_fma_f64 v[45:46], v[10:11], s[22:23], v[6:7]
	;; [unrolled: 1-line block ×4, first 2 shown]
	v_add_f64 v[18:19], v[28:29], v[14:15]
	v_add_f64 v[20:21], v[35:36], v[22:23]
	;; [unrolled: 1-line block ×3, first 2 shown]
	v_add_f64 v[8:9], v[51:52], -v[37:38]
	v_add_f64 v[28:29], v[16:17], v[14:15]
	v_add_f64 v[24:25], v[24:25], v[22:23]
	v_add_co_u32_e32 v35, vcc, v0, v26
	v_addc_co_u32_e32 v36, vcc, v1, v27, vcc
	global_store_dwordx4 v[35:36], v[2:5], off
	v_add_f64 v[14:15], v[18:19], -v[45:46]
	v_lshlrev_b64 v[2:3], 4, v[30:31]
	v_mov_b32_e32 v4, v33
	v_mad_u64_u32 v[4:5], s[0:1], s3, v72, v[4:5]
	v_add_co_u32_e32 v2, vcc, v0, v2
	v_addc_co_u32_e32 v3, vcc, v1, v3, vcc
	global_store_dwordx4 v[2:3], v[6:9], off
	v_mov_b32_e32 v33, v4
	v_or_b32_e32 v6, 0x440, v104
	v_mad_u64_u32 v[4:5], s[0:1], s2, v6, 0
	v_add_f64 v[10:11], v[43:44], v[28:29]
	v_add_f64 v[12:13], v[24:25], -v[47:48]
	v_mad_u64_u32 v[5:6], s[0:1], s3, v6, v[5:6]
	v_add_u32_e32 v8, 0x560, v104
	v_lshlrev_b64 v[2:3], 4, v[32:33]
	v_mad_u64_u32 v[6:7], s[0:1], s2, v8, 0
	v_add_f64 v[16:17], v[41:42], v[20:21]
	v_add_co_u32_e32 v2, vcc, v0, v2
	v_addc_co_u32_e32 v3, vcc, v1, v3, vcc
	global_store_dwordx4 v[2:3], v[10:13], off
	v_lshlrev_b64 v[2:3], 4, v[4:5]
	v_mov_b32_e32 v4, v7
	v_mad_u64_u32 v[4:5], s[0:1], s3, v8, v[4:5]
	v_add_co_u32_e32 v2, vcc, v0, v2
	v_addc_co_u32_e32 v3, vcc, v1, v3, vcc
	v_mov_b32_e32 v7, v4
	global_store_dwordx4 v[2:3], v[14:17], off
	v_lshlrev_b64 v[2:3], 4, v[6:7]
	v_or_b32_e32 v6, 0x680, v104
	v_mad_u64_u32 v[4:5], s[0:1], s2, v6, 0
	v_add_f64 v[18:19], v[45:46], v[18:19]
	v_add_f64 v[20:21], v[20:21], -v[41:42]
	v_mad_u64_u32 v[5:6], s[0:1], s3, v6, v[5:6]
	v_add_u32_e32 v8, 0x7a0, v104
	v_mad_u64_u32 v[6:7], s[0:1], s2, v8, 0
	v_add_f64 v[22:23], v[28:29], -v[43:44]
	v_add_f64 v[24:25], v[47:48], v[24:25]
	v_add_co_u32_e32 v2, vcc, v0, v2
	v_addc_co_u32_e32 v3, vcc, v1, v3, vcc
	global_store_dwordx4 v[2:3], v[18:21], off
	v_lshlrev_b64 v[2:3], 4, v[4:5]
	v_mov_b32_e32 v4, v7
	v_mad_u64_u32 v[4:5], s[0:1], s3, v8, v[4:5]
	v_add_f64 v[26:27], v[49:50], -v[39:40]
	v_add_f64 v[28:29], v[37:38], v[51:52]
	v_add_co_u32_e32 v2, vcc, v0, v2
	v_addc_co_u32_e32 v3, vcc, v1, v3, vcc
	v_mov_b32_e32 v7, v4
	global_store_dwordx4 v[2:3], v[22:25], off
	v_lshlrev_b64 v[2:3], 4, v[6:7]
	v_add_co_u32_e32 v0, vcc, v0, v2
	v_addc_co_u32_e32 v1, vcc, v1, v3, vcc
	global_store_dwordx4 v[0:1], v[26:29], off
.LBB0_20:
	s_endpgm
	.section	.rodata,"a",@progbits
	.p2align	6, 0x0
	.amdhsa_kernel fft_rtc_fwd_len2016_factors_2_2_2_2_2_3_3_7_wgs_224_tpt_112_halfLds_dp_ip_CI_sbrr_dirReg
		.amdhsa_group_segment_fixed_size 0
		.amdhsa_private_segment_fixed_size 0
		.amdhsa_kernarg_size 88
		.amdhsa_user_sgpr_count 6
		.amdhsa_user_sgpr_private_segment_buffer 1
		.amdhsa_user_sgpr_dispatch_ptr 0
		.amdhsa_user_sgpr_queue_ptr 0
		.amdhsa_user_sgpr_kernarg_segment_ptr 1
		.amdhsa_user_sgpr_dispatch_id 0
		.amdhsa_user_sgpr_flat_scratch_init 0
		.amdhsa_user_sgpr_private_segment_size 0
		.amdhsa_uses_dynamic_stack 0
		.amdhsa_system_sgpr_private_segment_wavefront_offset 0
		.amdhsa_system_sgpr_workgroup_id_x 1
		.amdhsa_system_sgpr_workgroup_id_y 0
		.amdhsa_system_sgpr_workgroup_id_z 0
		.amdhsa_system_sgpr_workgroup_info 0
		.amdhsa_system_vgpr_workitem_id 0
		.amdhsa_next_free_vgpr 146
		.amdhsa_next_free_sgpr 32
		.amdhsa_reserve_vcc 1
		.amdhsa_reserve_flat_scratch 0
		.amdhsa_float_round_mode_32 0
		.amdhsa_float_round_mode_16_64 0
		.amdhsa_float_denorm_mode_32 3
		.amdhsa_float_denorm_mode_16_64 3
		.amdhsa_dx10_clamp 1
		.amdhsa_ieee_mode 1
		.amdhsa_fp16_overflow 0
		.amdhsa_exception_fp_ieee_invalid_op 0
		.amdhsa_exception_fp_denorm_src 0
		.amdhsa_exception_fp_ieee_div_zero 0
		.amdhsa_exception_fp_ieee_overflow 0
		.amdhsa_exception_fp_ieee_underflow 0
		.amdhsa_exception_fp_ieee_inexact 0
		.amdhsa_exception_int_div_zero 0
	.end_amdhsa_kernel
	.text
.Lfunc_end0:
	.size	fft_rtc_fwd_len2016_factors_2_2_2_2_2_3_3_7_wgs_224_tpt_112_halfLds_dp_ip_CI_sbrr_dirReg, .Lfunc_end0-fft_rtc_fwd_len2016_factors_2_2_2_2_2_3_3_7_wgs_224_tpt_112_halfLds_dp_ip_CI_sbrr_dirReg
                                        ; -- End function
	.section	.AMDGPU.csdata,"",@progbits
; Kernel info:
; codeLenInByte = 16036
; NumSgprs: 36
; NumVgprs: 146
; ScratchSize: 0
; MemoryBound: 1
; FloatMode: 240
; IeeeMode: 1
; LDSByteSize: 0 bytes/workgroup (compile time only)
; SGPRBlocks: 4
; VGPRBlocks: 36
; NumSGPRsForWavesPerEU: 36
; NumVGPRsForWavesPerEU: 146
; Occupancy: 1
; WaveLimiterHint : 1
; COMPUTE_PGM_RSRC2:SCRATCH_EN: 0
; COMPUTE_PGM_RSRC2:USER_SGPR: 6
; COMPUTE_PGM_RSRC2:TRAP_HANDLER: 0
; COMPUTE_PGM_RSRC2:TGID_X_EN: 1
; COMPUTE_PGM_RSRC2:TGID_Y_EN: 0
; COMPUTE_PGM_RSRC2:TGID_Z_EN: 0
; COMPUTE_PGM_RSRC2:TIDIG_COMP_CNT: 0
	.type	__hip_cuid_f789aa584029c3d8,@object ; @__hip_cuid_f789aa584029c3d8
	.section	.bss,"aw",@nobits
	.globl	__hip_cuid_f789aa584029c3d8
__hip_cuid_f789aa584029c3d8:
	.byte	0                               ; 0x0
	.size	__hip_cuid_f789aa584029c3d8, 1

	.ident	"AMD clang version 19.0.0git (https://github.com/RadeonOpenCompute/llvm-project roc-6.4.0 25133 c7fe45cf4b819c5991fe208aaa96edf142730f1d)"
	.section	".note.GNU-stack","",@progbits
	.addrsig
	.addrsig_sym __hip_cuid_f789aa584029c3d8
	.amdgpu_metadata
---
amdhsa.kernels:
  - .args:
      - .actual_access:  read_only
        .address_space:  global
        .offset:         0
        .size:           8
        .value_kind:     global_buffer
      - .offset:         8
        .size:           8
        .value_kind:     by_value
      - .actual_access:  read_only
        .address_space:  global
        .offset:         16
        .size:           8
        .value_kind:     global_buffer
      - .actual_access:  read_only
        .address_space:  global
        .offset:         24
        .size:           8
        .value_kind:     global_buffer
      - .offset:         32
        .size:           8
        .value_kind:     by_value
      - .actual_access:  read_only
        .address_space:  global
        .offset:         40
        .size:           8
        .value_kind:     global_buffer
      - .actual_access:  read_only
        .address_space:  global
        .offset:         48
        .size:           8
        .value_kind:     global_buffer
      - .offset:         56
        .size:           4
        .value_kind:     by_value
      - .actual_access:  read_only
        .address_space:  global
        .offset:         64
        .size:           8
        .value_kind:     global_buffer
      - .actual_access:  read_only
        .address_space:  global
        .offset:         72
        .size:           8
        .value_kind:     global_buffer
      - .address_space:  global
        .offset:         80
        .size:           8
        .value_kind:     global_buffer
    .group_segment_fixed_size: 0
    .kernarg_segment_align: 8
    .kernarg_segment_size: 88
    .language:       OpenCL C
    .language_version:
      - 2
      - 0
    .max_flat_workgroup_size: 224
    .name:           fft_rtc_fwd_len2016_factors_2_2_2_2_2_3_3_7_wgs_224_tpt_112_halfLds_dp_ip_CI_sbrr_dirReg
    .private_segment_fixed_size: 0
    .sgpr_count:     36
    .sgpr_spill_count: 0
    .symbol:         fft_rtc_fwd_len2016_factors_2_2_2_2_2_3_3_7_wgs_224_tpt_112_halfLds_dp_ip_CI_sbrr_dirReg.kd
    .uniform_work_group_size: 1
    .uses_dynamic_stack: false
    .vgpr_count:     146
    .vgpr_spill_count: 0
    .wavefront_size: 64
amdhsa.target:   amdgcn-amd-amdhsa--gfx906
amdhsa.version:
  - 1
  - 2
...

	.end_amdgpu_metadata
